;; amdgpu-corpus repo=ROCm/rocFFT kind=compiled arch=gfx1030 opt=O3
	.text
	.amdgcn_target "amdgcn-amd-amdhsa--gfx1030"
	.amdhsa_code_object_version 6
	.protected	bluestein_single_fwd_len1056_dim1_dp_op_CI_CI ; -- Begin function bluestein_single_fwd_len1056_dim1_dp_op_CI_CI
	.globl	bluestein_single_fwd_len1056_dim1_dp_op_CI_CI
	.p2align	8
	.type	bluestein_single_fwd_len1056_dim1_dp_op_CI_CI,@function
bluestein_single_fwd_len1056_dim1_dp_op_CI_CI: ; @bluestein_single_fwd_len1056_dim1_dp_op_CI_CI
; %bb.0:
	s_load_dwordx4 s[16:19], s[4:5], 0x28
	v_mul_u32_u24_e32 v1, 0x175, v0
	s_mov_b64 s[38:39], s[2:3]
	s_mov_b64 s[36:37], s[0:1]
	v_mov_b32_e32 v6, 0
	s_add_u32 s36, s36, s7
	v_lshrrev_b32_e32 v1, 16, v1
	s_addc_u32 s37, s37, 0
	s_mov_b32 s0, exec_lo
	v_add_nc_u32_e32 v5, s6, v1
	s_waitcnt lgkmcnt(0)
	v_cmpx_gt_u64_e64 s[16:17], v[5:6]
	s_cbranch_execz .LBB0_10
; %bb.1:
	s_clause 0x1
	s_load_dwordx4 s[8:11], s[4:5], 0x18
	s_load_dwordx4 s[0:3], s[4:5], 0x0
	v_mul_lo_u16 v1, 0xb0, v1
	v_mov_b32_e32 v6, v5
	s_load_dwordx2 s[4:5], s[4:5], 0x38
                                        ; implicit-def: $vgpr80_vgpr81
                                        ; implicit-def: $vgpr88_vgpr89
                                        ; implicit-def: $vgpr92_vgpr93
                                        ; implicit-def: $vgpr96_vgpr97
                                        ; implicit-def: $vgpr100_vgpr101
	v_sub_nc_u16 v0, v0, v1
	v_and_b32_e32 v108, 0xffff, v0
	v_lshlrev_b32_e32 v255, 4, v108
	s_waitcnt lgkmcnt(0)
	s_load_dwordx4 s[12:15], s[8:9], 0x0
	buffer_store_dword v6, off, s[36:39], 0 offset:16 ; 4-byte Folded Spill
	buffer_store_dword v7, off, s[36:39], 0 offset:20 ; 4-byte Folded Spill
	global_load_dwordx4 v[70:73], v255, s[0:1]
	s_waitcnt lgkmcnt(0)
	v_mad_u64_u32 v[1:2], null, s14, v5, 0
	v_mad_u64_u32 v[3:4], null, s12, v108, 0
	s_mul_i32 s6, s13, 0x2100
	s_mul_hi_u32 s7, s12, 0x2100
	s_mul_i32 s8, s12, 0x2100
	s_add_i32 s7, s7, s6
	v_add_co_u32 v128, s6, s0, v255
	v_mad_u64_u32 v[5:6], null, s15, v5, v[2:3]
	v_add_co_ci_u32_e64 v116, null, s1, 0, s6
	s_mul_i32 s0, s13, 0xffffea00
	s_sub_i32 s0, s0, s12
	v_mad_u64_u32 v[6:7], null, s13, v108, v[4:5]
	v_mov_b32_e32 v2, v5
	v_lshlrev_b64 v[1:2], 4, v[1:2]
	v_mov_b32_e32 v4, v6
	v_add_co_u32 v1, vcc_lo, s18, v1
	v_lshlrev_b64 v[3:4], 4, v[3:4]
	v_add_co_ci_u32_e32 v2, vcc_lo, s19, v2, vcc_lo
	v_add_co_u32 v1, vcc_lo, v1, v3
	v_add_co_ci_u32_e32 v2, vcc_lo, v2, v4, vcc_lo
	v_add_co_u32 v12, vcc_lo, v1, s8
	;; [unrolled: 2-line block ×3, first 2 shown]
	v_add_co_ci_u32_e32 v4, vcc_lo, 0, v116, vcc_lo
	v_mad_u64_u32 v[14:15], null, 0xffffea00, s12, v[12:13]
	v_add_co_u32 v5, vcc_lo, 0x800, v128
	v_add_co_ci_u32_e32 v6, vcc_lo, 0, v116, vcc_lo
	v_add_co_u32 v16, vcc_lo, 0x2800, v128
	v_add_nc_u32_e32 v15, s0, v15
	s_clause 0x1
	global_load_dwordx4 v[8:11], v[3:4], off offset:256
	global_load_dwordx4 v[3:6], v[5:6], off offset:768
	s_clause 0x2
	global_load_dwordx4 v[24:27], v[1:2], off
	global_load_dwordx4 v[28:31], v[12:13], off
	;; [unrolled: 1-line block ×3, first 2 shown]
	v_add_co_ci_u32_e32 v17, vcc_lo, 0, v116, vcc_lo
	v_add_co_u32 v18, vcc_lo, v14, s8
	v_add_co_ci_u32_e32 v19, vcc_lo, s7, v15, vcc_lo
	v_add_co_u32 v20, vcc_lo, 0x1000, v128
	v_add_co_ci_u32_e32 v21, vcc_lo, 0, v116, vcc_lo
	v_mad_u64_u32 v[22:23], null, 0xffffea00, s12, v[18:19]
	v_add_co_u32 v44, vcc_lo, 0x3000, v128
	v_add_co_ci_u32_e32 v45, vcc_lo, 0, v116, vcc_lo
	global_load_dwordx4 v[36:39], v[18:19], off
	v_add_nc_u32_e32 v23, s0, v23
	v_add_co_u32 v1, vcc_lo, v22, s8
	v_add_co_ci_u32_e32 v2, vcc_lo, s7, v23, vcc_lo
	s_clause 0x1
	global_load_dwordx4 v[16:19], v[16:17], off offset:1024
	global_load_dwordx4 v[12:15], v[20:21], off offset:1536
	global_load_dwordx4 v[40:43], v[22:23], off
	global_load_dwordx4 v[20:23], v[44:45], off offset:1792
	global_load_dwordx4 v[44:47], v[1:2], off
	v_cmp_gt_u16_e32 vcc_lo, 0x60, v0
	s_waitcnt vmcnt(8)
	v_mul_f64 v[1:2], v[26:27], v[72:73]
	v_mul_f64 v[48:49], v[24:25], v[72:73]
	s_waitcnt vmcnt(6)
	v_mul_f64 v[54:55], v[34:35], v[5:6]
	v_mul_f64 v[56:57], v[32:33], v[5:6]
	;; [unrolled: 1-line block ×4, first 2 shown]
	v_fma_f64 v[24:25], v[24:25], v[70:71], v[1:2]
	buffer_store_dword v70, off, s[36:39], 0 ; 4-byte Folded Spill
	buffer_store_dword v71, off, s[36:39], 0 offset:4 ; 4-byte Folded Spill
	buffer_store_dword v72, off, s[36:39], 0 offset:8 ; 4-byte Folded Spill
	;; [unrolled: 1-line block ×3, first 2 shown]
	v_fma_f64 v[32:33], v[32:33], v[3:4], v[54:55]
	buffer_store_dword v3, off, s[36:39], 0 offset:28 ; 4-byte Folded Spill
	buffer_store_dword v4, off, s[36:39], 0 offset:32 ; 4-byte Folded Spill
	;; [unrolled: 1-line block ×4, first 2 shown]
	s_waitcnt vmcnt(4)
	v_mul_f64 v[58:59], v[38:39], v[18:19]
	v_mul_f64 v[60:61], v[36:37], v[18:19]
	s_waitcnt vmcnt(2)
	v_mul_f64 v[62:63], v[42:43], v[14:15]
	v_mul_f64 v[64:65], v[40:41], v[14:15]
	;; [unrolled: 3-line block ×3, first 2 shown]
	v_fma_f64 v[28:29], v[28:29], v[8:9], v[50:51]
	v_fma_f64 v[30:31], v[30:31], v[8:9], -v[52:53]
	s_load_dwordx4 s[8:11], s[10:11], 0x0
	v_lshlrev_b32_e32 v1, 1, v108
	v_add_nc_u32_e32 v2, 0x160, v1
	v_lshlrev_b32_e32 v5, 4, v1
	v_fma_f64 v[36:37], v[36:37], v[16:17], v[58:59]
	v_fma_f64 v[38:39], v[38:39], v[16:17], -v[60:61]
	v_fma_f64 v[40:41], v[40:41], v[12:13], v[62:63]
	v_fma_f64 v[42:43], v[42:43], v[12:13], -v[64:65]
	;; [unrolled: 2-line block ×3, first 2 shown]
	v_fma_f64 v[26:27], v[26:27], v[70:71], -v[48:49]
	v_lshlrev_b32_e32 v49, 5, v108
	v_fma_f64 v[34:35], v[34:35], v[3:4], -v[56:57]
	v_and_b32_e32 v4, 1, v108
	v_add_nc_u32_e32 v3, 0x2c0, v1
	v_lshlrev_b32_e32 v48, 4, v2
	ds_write_b128 v255, v[24:27]
	ds_write_b128 v255, v[28:31] offset:8448
	ds_write_b128 v255, v[32:35] offset:2816
	;; [unrolled: 1-line block ×5, first 2 shown]
	s_waitcnt lgkmcnt(0)
	s_waitcnt_vscnt null, 0x0
	s_barrier
	buffer_gl0_inv
	ds_read_b128 v[24:27], v255 offset:8448
	ds_read_b128 v[28:31], v255
	ds_read_b128 v[32:35], v255 offset:2816
	ds_read_b128 v[36:39], v255 offset:11264
	;; [unrolled: 1-line block ×4, first 2 shown]
	v_lshlrev_b32_e32 v6, 4, v4
	v_lshlrev_b32_e32 v7, 4, v3
	s_waitcnt lgkmcnt(0)
	s_barrier
	buffer_gl0_inv
	buffer_store_dword v49, off, s[36:39], 0 offset:60 ; 4-byte Folded Spill
	v_add_f64 v[24:25], v[28:29], -v[24:25]
	v_add_f64 v[26:27], v[30:31], -v[26:27]
	;; [unrolled: 1-line block ×6, first 2 shown]
	v_fma_f64 v[28:29], v[28:29], 2.0, -v[24:25]
	v_fma_f64 v[30:31], v[30:31], 2.0, -v[26:27]
	;; [unrolled: 1-line block ×6, first 2 shown]
	ds_write_b128 v49, v[24:27] offset:16
	ds_write_b128 v49, v[28:31]
	ds_write_b128 v5, v[32:35] offset:5632
	buffer_store_dword v48, off, s[36:39], 0 offset:56 ; 4-byte Folded Spill
	ds_write_b128 v48, v[36:39] offset:16
	ds_write_b128 v5, v[40:43] offset:11264
	buffer_store_dword v7, off, s[36:39], 0 offset:52 ; 4-byte Folded Spill
	ds_write_b128 v7, v[44:47] offset:16
	s_waitcnt lgkmcnt(0)
	s_waitcnt_vscnt null, 0x0
	s_barrier
	buffer_gl0_inv
	global_load_dwordx4 v[24:27], v6, s[2:3]
	ds_read_b128 v[28:31], v255 offset:8448
	ds_read_b128 v[32:35], v255 offset:11264
	;; [unrolled: 1-line block ×4, first 2 shown]
	ds_read_b128 v[44:47], v255
	ds_read_b128 v[48:51], v255 offset:2816
	v_and_b32_e32 v5, 3, v108
	v_and_or_b32 v6, 0x1fc, v1, v4
	v_and_or_b32 v7, 0x3fc, v2, v4
	;; [unrolled: 1-line block ×3, first 2 shown]
	s_waitcnt vmcnt(0) lgkmcnt(0)
	s_barrier
	buffer_gl0_inv
	v_lshlrev_b32_e32 v4, 4, v4
	v_mul_f64 v[52:53], v[30:31], v[26:27]
	v_mul_f64 v[54:55], v[28:29], v[26:27]
	;; [unrolled: 1-line block ×6, first 2 shown]
	v_fma_f64 v[28:29], v[28:29], v[24:25], -v[52:53]
	v_fma_f64 v[30:31], v[30:31], v[24:25], v[54:55]
	v_fma_f64 v[32:33], v[32:33], v[24:25], -v[56:57]
	v_fma_f64 v[34:35], v[34:35], v[24:25], v[58:59]
	;; [unrolled: 2-line block ×3, first 2 shown]
	v_lshlrev_b32_e32 v52, 4, v5
	v_lshlrev_b32_e32 v53, 4, v6
	;; [unrolled: 1-line block ×3, first 2 shown]
	v_and_or_b32 v7, 0x3f8, v2, v5
	buffer_store_dword v53, off, s[36:39], 0 offset:72 ; 4-byte Folded Spill
	v_add_f64 v[28:29], v[44:45], -v[28:29]
	v_add_f64 v[30:31], v[46:47], -v[30:31]
	;; [unrolled: 1-line block ×6, first 2 shown]
	v_fma_f64 v[44:45], v[44:45], 2.0, -v[28:29]
	v_fma_f64 v[46:47], v[46:47], 2.0, -v[30:31]
	v_fma_f64 v[48:49], v[48:49], 2.0, -v[32:33]
	v_fma_f64 v[50:51], v[50:51], 2.0, -v[34:35]
	v_fma_f64 v[40:41], v[40:41], 2.0, -v[36:37]
	v_fma_f64 v[42:43], v[42:43], 2.0, -v[38:39]
	ds_write_b128 v53, v[28:31] offset:32
	ds_write_b128 v53, v[44:47]
	ds_write_b128 v6, v[48:51]
	buffer_store_dword v6, off, s[36:39], 0 offset:68 ; 4-byte Folded Spill
	ds_write_b128 v6, v[32:35] offset:32
	ds_write_b128 v4, v[40:43]
	buffer_store_dword v4, off, s[36:39], 0 offset:64 ; 4-byte Folded Spill
	ds_write_b128 v4, v[36:39] offset:32
	s_waitcnt lgkmcnt(0)
	s_waitcnt_vscnt null, 0x0
	s_barrier
	buffer_gl0_inv
	global_load_dwordx4 v[32:35], v52, s[2:3] offset:32
	ds_read_b128 v[28:31], v255 offset:8448
	ds_read_b128 v[36:39], v255 offset:11264
	;; [unrolled: 1-line block ×4, first 2 shown]
	ds_read_b128 v[48:51], v255
	ds_read_b128 v[52:55], v255 offset:2816
	v_and_b32_e32 v4, 7, v108
	v_and_or_b32 v6, 0x1f8, v1, v5
	v_and_or_b32 v5, 0x7f8, v3, v5
	s_waitcnt vmcnt(0) lgkmcnt(0)
	s_barrier
	buffer_gl0_inv
	v_and_or_b32 v1, 0x1f0, v1, v4
	v_lshlrev_b32_e32 v5, 4, v5
	v_and_or_b32 v2, 0x3f0, v2, v4
	v_and_or_b32 v3, 0x7f0, v3, v4
	v_lshlrev_b32_e32 v0, 4, v3
	v_mul_f64 v[56:57], v[30:31], v[34:35]
	v_mul_f64 v[58:59], v[28:29], v[34:35]
	;; [unrolled: 1-line block ×6, first 2 shown]
	v_fma_f64 v[28:29], v[28:29], v[32:33], -v[56:57]
	v_fma_f64 v[30:31], v[30:31], v[32:33], v[58:59]
	v_fma_f64 v[36:37], v[36:37], v[32:33], -v[60:61]
	v_fma_f64 v[38:39], v[38:39], v[32:33], v[62:63]
	;; [unrolled: 2-line block ×3, first 2 shown]
	v_lshlrev_b32_e32 v56, 4, v4
	v_lshlrev_b32_e32 v57, 4, v6
	;; [unrolled: 1-line block ×5, first 2 shown]
	buffer_store_dword v57, off, s[36:39], 0 offset:96 ; 4-byte Folded Spill
	v_add_f64 v[28:29], v[48:49], -v[28:29]
	v_add_f64 v[30:31], v[50:51], -v[30:31]
	;; [unrolled: 1-line block ×6, first 2 shown]
	v_fma_f64 v[48:49], v[48:49], 2.0, -v[28:29]
	v_fma_f64 v[50:51], v[50:51], 2.0, -v[30:31]
	;; [unrolled: 1-line block ×6, first 2 shown]
	ds_write_b128 v57, v[28:31] offset:64
	ds_write_b128 v57, v[48:51]
	ds_write_b128 v6, v[52:55]
	buffer_store_dword v6, off, s[36:39], 0 offset:88 ; 4-byte Folded Spill
	ds_write_b128 v6, v[36:39] offset:64
	ds_write_b128 v5, v[44:47]
	buffer_store_dword v5, off, s[36:39], 0 offset:80 ; 4-byte Folded Spill
	ds_write_b128 v5, v[40:43] offset:64
	s_waitcnt lgkmcnt(0)
	s_waitcnt_vscnt null, 0x0
	s_barrier
	buffer_gl0_inv
	global_load_dwordx4 v[36:39], v56, s[2:3] offset:96
	ds_read_b128 v[28:31], v255 offset:8448
	ds_read_b128 v[40:43], v255 offset:11264
	;; [unrolled: 1-line block ×4, first 2 shown]
	ds_read_b128 v[52:55], v255
	ds_read_b128 v[56:59], v255 offset:2816
	s_waitcnt vmcnt(0) lgkmcnt(0)
	s_barrier
	buffer_gl0_inv
	buffer_store_dword v4, off, s[36:39], 0 offset:92 ; 4-byte Folded Spill
	v_mul_f64 v[60:61], v[30:31], v[38:39]
	v_mul_f64 v[62:63], v[28:29], v[38:39]
	;; [unrolled: 1-line block ×6, first 2 shown]
	v_fma_f64 v[28:29], v[28:29], v[36:37], -v[60:61]
	v_fma_f64 v[30:31], v[30:31], v[36:37], v[62:63]
	v_fma_f64 v[40:41], v[40:41], v[36:37], -v[64:65]
	v_fma_f64 v[42:43], v[42:43], v[36:37], v[66:67]
	;; [unrolled: 2-line block ×3, first 2 shown]
	v_add_f64 v[60:61], v[52:53], -v[28:29]
	v_add_f64 v[62:63], v[54:55], -v[30:31]
	;; [unrolled: 1-line block ×6, first 2 shown]
	v_fma_f64 v[76:77], v[52:53], 2.0, -v[60:61]
	v_fma_f64 v[78:79], v[54:55], 2.0, -v[62:63]
	v_fma_f64 v[72:73], v[56:57], 2.0, -v[64:65]
	v_fma_f64 v[74:75], v[58:59], 2.0, -v[66:67]
	v_fma_f64 v[84:85], v[48:49], 2.0, -v[68:69]
	v_fma_f64 v[86:87], v[50:51], 2.0, -v[70:71]
	ds_write_b128 v4, v[60:63] offset:128
	ds_write_b128 v4, v[76:79]
	ds_write_b128 v1, v[72:75]
	buffer_store_dword v1, off, s[36:39], 0 offset:84 ; 4-byte Folded Spill
	ds_write_b128 v1, v[64:67] offset:128
	ds_write_b128 v0, v[84:87]
	buffer_store_dword v0, off, s[36:39], 0 offset:76 ; 4-byte Folded Spill
	ds_write_b128 v0, v[68:71] offset:128
	s_waitcnt lgkmcnt(0)
	s_waitcnt_vscnt null, 0x0
	s_barrier
	buffer_gl0_inv
	s_and_saveexec_b32 s0, vcc_lo
	s_cbranch_execz .LBB0_3
; %bb.2:
	ds_read_b128 v[76:79], v255
	ds_read_b128 v[60:63], v255 offset:1536
	ds_read_b128 v[72:75], v255 offset:3072
	;; [unrolled: 1-line block ×10, first 2 shown]
.LBB0_3:
	s_or_b32 exec_lo, exec_lo, s0
	v_and_b32_e32 v0, 15, v108
	s_mov_b32 s19, 0xbfed1bb4
	s_mov_b32 s18, 0x8eee2c13
	;; [unrolled: 1-line block ×4, first 2 shown]
	buffer_store_dword v0, off, s[36:39], 0 offset:44 ; 4-byte Folded Spill
	v_mad_u64_u32 v[0:1], null, 0xa0, v0, s[2:3]
	s_mov_b32 s0, 0x8764f0ba
	s_mov_b32 s1, 0x3feaeb8c
	;; [unrolled: 1-line block ×5, first 2 shown]
	s_clause 0x5
	global_load_dwordx4 v[28:31], v[0:1], off offset:224
	global_load_dwordx4 v[48:51], v[0:1], off offset:368
	;; [unrolled: 1-line block ×6, first 2 shown]
	s_mov_b32 s21, 0xbfefac9e
	s_mov_b32 s12, 0x640f44db
	;; [unrolled: 1-line block ×17, first 2 shown]
	v_mov_b32_e32 v119, v108
	s_waitcnt vmcnt(5) lgkmcnt(9)
	v_mul_f64 v[104:105], v[62:63], v[30:31]
	v_mul_f64 v[2:3], v[60:61], v[30:31]
	v_fma_f64 v[143:144], v[60:61], v[28:29], -v[104:105]
	s_waitcnt vmcnt(4) lgkmcnt(0)
	v_mul_f64 v[60:61], v[102:103], v[50:51]
	v_fma_f64 v[145:146], v[62:63], v[28:29], v[2:3]
	v_mul_f64 v[2:3], v[100:101], v[50:51]
	v_fma_f64 v[4:5], v[100:101], v[48:49], -v[60:61]
	s_waitcnt vmcnt(3)
	v_mul_f64 v[60:61], v[74:75], v[42:43]
	v_fma_f64 v[6:7], v[102:103], v[48:49], v[2:3]
	v_mul_f64 v[2:3], v[72:73], v[42:43]
	v_add_f64 v[177:178], v[143:144], v[4:5]
	v_fma_f64 v[129:130], v[72:73], v[40:41], -v[60:61]
	s_waitcnt vmcnt(2)
	v_mul_f64 v[60:61], v[64:65], v[46:47]
	v_fma_f64 v[131:132], v[74:75], v[40:41], v[2:3]
	v_mul_f64 v[2:3], v[66:67], v[46:47]
	v_fma_f64 v[124:125], v[66:67], v[44:45], v[60:61]
	s_waitcnt vmcnt(1)
	v_mul_f64 v[60:61], v[84:85], v[54:55]
	v_fma_f64 v[120:121], v[64:65], v[44:45], -v[2:3]
	v_mul_f64 v[2:3], v[86:87], v[54:55]
	v_fma_f64 v[126:127], v[86:87], v[52:53], v[60:61]
	s_waitcnt vmcnt(0)
	v_mul_f64 v[60:61], v[98:99], v[58:59]
	v_fma_f64 v[122:123], v[84:85], v[52:53], -v[2:3]
	v_mul_f64 v[2:3], v[96:97], v[58:59]
	v_fma_f64 v[84:85], v[96:97], v[56:57], -v[60:61]
	s_clause 0x1
	global_load_dwordx4 v[60:63], v[0:1], off offset:288
	global_load_dwordx4 v[64:67], v[0:1], off offset:304
	v_fma_f64 v[86:87], v[98:99], v[56:57], v[2:3]
	v_add_f64 v[114:115], v[129:130], -v[84:85]
	v_add_f64 v[147:148], v[131:132], v[86:87]
	v_mul_f64 v[197:198], v[114:115], s[24:25]
	v_mul_f64 v[213:214], v[114:115], s[28:29]
	;; [unrolled: 1-line block ×4, first 2 shown]
	v_fma_f64 v[102:103], v[147:148], s[14:15], -v[197:198]
	v_fma_f64 v[106:107], v[147:148], s[16:17], -v[213:214]
	;; [unrolled: 1-line block ×3, first 2 shown]
	s_waitcnt vmcnt(1)
	v_mul_f64 v[2:3], v[70:71], v[62:63]
	v_fma_f64 v[135:136], v[68:69], v[60:61], -v[2:3]
	v_mul_f64 v[2:3], v[68:69], v[62:63]
	v_fma_f64 v[139:140], v[70:71], v[60:61], v[2:3]
	s_clause 0x1
	global_load_dwordx4 v[68:71], v[0:1], off offset:320
	global_load_dwordx4 v[72:75], v[0:1], off offset:336
	s_waitcnt vmcnt(2)
	v_mul_f64 v[2:3], v[82:83], v[66:67]
	v_fma_f64 v[137:138], v[80:81], v[64:65], -v[2:3]
	v_mul_f64 v[2:3], v[80:81], v[66:67]
	v_add_f64 v[159:160], v[135:136], v[137:138]
	v_fma_f64 v[141:142], v[82:83], v[64:65], v[2:3]
	v_add_f64 v[2:3], v[145:146], -v[6:7]
	v_add_f64 v[117:118], v[139:140], -v[141:142]
	v_mul_f64 v[179:180], v[2:3], s[22:23]
	v_add_f64 v[167:168], v[139:140], v[141:142]
	v_mul_f64 v[229:230], v[2:3], s[18:19]
	v_mul_f64 v[235:236], v[2:3], s[20:21]
	;; [unrolled: 1-line block ×7, first 2 shown]
	s_waitcnt vmcnt(1)
	v_mul_f64 v[0:1], v[90:91], v[70:71]
	v_fma_f64 v[133:134], v[88:89], v[68:69], -v[0:1]
	v_mul_f64 v[0:1], v[88:89], v[70:71]
	v_add_f64 v[163:164], v[122:123], v[133:134]
	v_fma_f64 v[88:89], v[90:91], v[68:69], v[0:1]
	s_waitcnt vmcnt(0)
	v_mul_f64 v[0:1], v[94:95], v[74:75]
	v_add_f64 v[90:91], v[131:132], -v[86:87]
	v_add_f64 v[243:244], v[122:123], -v[133:134]
	v_add_f64 v[241:242], v[126:127], -v[88:89]
	v_fma_f64 v[80:81], v[92:93], v[72:73], -v[0:1]
	v_mul_f64 v[0:1], v[92:93], v[74:75]
	v_add_f64 v[92:93], v[129:130], v[84:85]
	v_add_f64 v[171:172], v[126:127], v[88:89]
	v_mul_f64 v[169:170], v[243:244], s[24:25]
	v_mul_f64 v[191:192], v[90:91], s[24:25]
	;; [unrolled: 1-line block ×8, first 2 shown]
	v_add_f64 v[151:152], v[120:121], v[80:81]
	v_fma_f64 v[82:83], v[94:95], v[72:73], v[0:1]
	v_mul_f64 v[94:95], v[90:91], s[18:19]
	v_fma_f64 v[0:1], v[177:178], s[0:1], v[179:180]
	v_add_f64 v[237:238], v[120:121], -v[80:81]
	v_fma_f64 v[100:101], v[92:93], s[14:15], v[191:192]
	v_mul_f64 v[181:182], v[241:242], s[30:31]
	v_fma_f64 v[104:105], v[92:93], s[16:17], v[209:210]
	v_mul_f64 v[201:202], v[241:242], s[22:23]
	;; [unrolled: 2-line block ×3, first 2 shown]
	buffer_store_dword v94, off, s[36:39], 0 offset:116 ; 4-byte Folded Spill
	buffer_store_dword v95, off, s[36:39], 0 offset:120 ; 4-byte Folded Spill
	;; [unrolled: 1-line block ×6, first 2 shown]
	v_add_f64 v[0:1], v[76:77], v[0:1]
	v_add_f64 v[233:234], v[124:125], -v[82:83]
	v_add_f64 v[155:156], v[124:125], v[82:83]
	v_mul_f64 v[153:154], v[237:238], s[20:21]
	v_mul_f64 v[193:194], v[237:238], s[28:29]
	;; [unrolled: 1-line block ×6, first 2 shown]
	v_fma_f64 v[94:95], v[92:93], s[6:7], v[94:95]
	v_add_f64 v[112:113], v[143:144], -v[4:5]
	v_mul_f64 v[4:5], v[114:115], s[18:19]
	v_add_f64 v[185:186], v[145:146], v[6:7]
	v_fma_f64 v[114:115], v[147:148], s[0:1], -v[251:252]
	buffer_store_dword v4, off, s[36:39], 0 offset:124 ; 4-byte Folded Spill
	buffer_store_dword v5, off, s[36:39], 0 offset:128 ; 4-byte Folded Spill
	v_mul_f64 v[183:184], v[112:113], s[22:23]
	v_add_f64 v[0:1], v[94:95], v[0:1]
	v_mul_f64 v[231:232], v[112:113], s[18:19]
	v_mul_f64 v[239:240], v[112:113], s[20:21]
	s_mov_b32 s19, 0x3fed1bb4
	s_waitcnt_vscnt null, 0x0
	v_mul_f64 v[205:206], v[233:234], s[18:19]
	v_mul_f64 v[207:208], v[237:238], s[18:19]
	;; [unrolled: 1-line block ×4, first 2 shown]
	s_barrier
	buffer_gl0_inv
	buffer_store_dword v119, off, s[36:39], 0 offset:24 ; 4-byte Folded Spill
	v_fma_f64 v[94:95], v[185:186], s[0:1], -v[183:184]
	v_add_f64 v[96:97], v[78:79], v[94:95]
	v_add_f64 v[94:95], v[135:136], -v[137:138]
	v_mul_f64 v[165:166], v[94:95], s[26:27]
	v_mul_f64 v[175:176], v[94:95], s[34:35]
	;; [unrolled: 1-line block ×3, first 2 shown]
	v_fma_f64 v[98:99], v[147:148], s[6:7], -v[4:5]
	v_add_f64 v[96:97], v[98:99], v[96:97]
	v_fma_f64 v[98:99], v[151:152], s[12:13], v[149:150]
	v_add_f64 v[0:1], v[98:99], v[0:1]
	v_fma_f64 v[98:99], v[155:156], s[12:13], -v[153:154]
	v_add_f64 v[96:97], v[98:99], v[96:97]
	v_fma_f64 v[98:99], v[163:164], s[14:15], v[161:162]
	v_add_f64 v[0:1], v[98:99], v[0:1]
	;; [unrolled: 4-line block ×4, first 2 shown]
	v_add_f64 v[0:1], v[100:101], v[0:1]
	v_fma_f64 v[100:101], v[185:186], s[6:7], -v[231:232]
	v_add_f64 v[100:101], v[78:79], v[100:101]
	v_add_f64 v[100:101], v[102:103], v[100:101]
	v_fma_f64 v[102:103], v[151:152], s[16:17], v[189:190]
	v_add_f64 v[0:1], v[102:103], v[0:1]
	v_fma_f64 v[102:103], v[155:156], s[16:17], -v[193:194]
	v_add_f64 v[100:101], v[102:103], v[100:101]
	v_fma_f64 v[102:103], v[163:164], s[12:13], v[181:182]
	v_add_f64 v[0:1], v[102:103], v[0:1]
	v_fma_f64 v[102:103], v[171:172], s[12:13], -v[187:188]
	;; [unrolled: 4-line block ×3, first 2 shown]
	v_add_f64 v[102:103], v[0:1], v[102:103]
	v_fma_f64 v[0:1], v[177:178], s[12:13], v[235:236]
	v_add_f64 v[0:1], v[76:77], v[0:1]
	v_add_f64 v[0:1], v[104:105], v[0:1]
	v_fma_f64 v[104:105], v[185:186], s[12:13], -v[239:240]
	v_add_f64 v[104:105], v[78:79], v[104:105]
	v_add_f64 v[104:105], v[106:107], v[104:105]
	v_fma_f64 v[106:107], v[151:152], s[6:7], v[205:206]
	v_add_f64 v[0:1], v[106:107], v[0:1]
	v_fma_f64 v[106:107], v[155:156], s[6:7], -v[207:208]
	v_add_f64 v[104:105], v[106:107], v[104:105]
	v_fma_f64 v[106:107], v[163:164], s[0:1], v[201:202]
	v_add_f64 v[0:1], v[106:107], v[0:1]
	v_fma_f64 v[106:107], v[171:172], s[0:1], -v[203:204]
	;; [unrolled: 4-line block ×3, first 2 shown]
	v_add_f64 v[106:107], v[0:1], v[106:107]
	v_fma_f64 v[0:1], v[177:178], s[14:15], v[245:246]
	v_add_f64 v[0:1], v[76:77], v[0:1]
	v_add_f64 v[108:109], v[108:109], v[0:1]
	v_mul_f64 v[0:1], v[112:113], s[24:25]
	v_fma_f64 v[110:111], v[185:186], s[14:15], -v[0:1]
	v_add_f64 v[110:111], v[78:79], v[110:111]
	v_add_f64 v[110:111], v[211:212], v[110:111]
	v_fma_f64 v[211:212], v[151:152], s[0:1], v[221:222]
	v_add_f64 v[108:109], v[211:212], v[108:109]
	v_fma_f64 v[211:212], v[155:156], s[0:1], -v[223:224]
	v_add_f64 v[110:111], v[211:212], v[110:111]
	v_fma_f64 v[211:212], v[163:164], s[16:17], v[217:218]
	v_add_f64 v[108:109], v[211:212], v[108:109]
	v_fma_f64 v[211:212], v[171:172], s[16:17], -v[219:220]
	v_add_f64 v[110:111], v[211:212], v[110:111]
	v_mul_f64 v[211:212], v[117:118], s[18:19]
	v_fma_f64 v[215:216], v[159:160], s[6:7], v[211:212]
	v_add_f64 v[108:109], v[215:216], v[108:109]
	v_mul_f64 v[215:216], v[94:95], s[18:19]
	v_fma_f64 v[247:248], v[167:168], s[6:7], -v[215:216]
	v_add_f64 v[110:111], v[247:248], v[110:111]
	v_mul_f64 v[247:248], v[90:91], s[34:35]
	v_fma_f64 v[90:91], v[177:178], s[16:17], v[2:3]
	v_fma_f64 v[249:250], v[92:93], s[0:1], v[247:248]
	v_add_f64 v[90:91], v[76:77], v[90:91]
	v_add_f64 v[253:254], v[249:250], v[90:91]
	v_mul_f64 v[90:91], v[112:113], s[26:27]
	v_mul_f64 v[249:250], v[233:234], s[24:25]
	v_fma_f64 v[112:113], v[185:186], s[16:17], -v[90:91]
	v_add_f64 v[112:113], v[78:79], v[112:113]
	v_add_f64 v[112:113], v[114:115], v[112:113]
	v_fma_f64 v[114:115], v[151:152], s[14:15], v[249:250]
	v_add_f64 v[114:115], v[114:115], v[253:254]
	v_mul_f64 v[253:254], v[237:238], s[24:25]
	v_mul_f64 v[237:238], v[94:95], s[20:21]
	v_fma_f64 v[233:234], v[155:156], s[14:15], -v[253:254]
	v_add_f64 v[112:113], v[233:234], v[112:113]
	v_fma_f64 v[233:234], v[163:164], s[6:7], v[241:242]
	v_add_f64 v[114:115], v[233:234], v[114:115]
	v_fma_f64 v[233:234], v[171:172], s[6:7], -v[243:244]
	v_add_f64 v[4:5], v[233:234], v[112:113]
	v_mul_f64 v[233:234], v[117:118], s[20:21]
	v_fma_f64 v[6:7], v[159:160], s[12:13], v[233:234]
	v_add_f64 v[112:113], v[6:7], v[114:115]
	v_fma_f64 v[6:7], v[167:168], s[12:13], -v[237:238]
	v_add_f64 v[114:115], v[6:7], v[4:5]
	v_lshrrev_b32_e32 v4, 4, v119
	buffer_store_dword v4, off, s[36:39], 0 offset:48 ; 4-byte Folded Spill
	s_and_saveexec_b32 s18, vcc_lo
	s_cbranch_execz .LBB0_5
; %bb.4:
	v_add_f64 v[145:146], v[78:79], v[145:146]
	v_mul_f64 v[6:7], v[177:178], s[16:17]
	v_mul_f64 v[4:5], v[185:186], s[16:17]
	;; [unrolled: 1-line block ×4, first 2 shown]
	v_add_f64 v[143:144], v[76:77], v[143:144]
	v_add_f64 v[131:132], v[145:146], v[131:132]
	v_mul_f64 v[145:146], v[92:93], s[12:13]
	v_add_f64 v[2:3], v[6:7], -v[2:3]
	v_mul_f64 v[6:7], v[185:186], s[14:15]
	v_add_f64 v[4:5], v[90:91], v[4:5]
	v_mul_f64 v[90:91], v[185:186], s[6:7]
	v_add_f64 v[94:95], v[183:184], v[94:95]
	v_add_f64 v[117:118], v[117:118], -v[179:180]
	v_mul_f64 v[179:180], v[177:178], s[6:7]
	v_mul_f64 v[183:184], v[177:178], s[12:13]
	;; [unrolled: 1-line block ×3, first 2 shown]
	v_add_f64 v[129:130], v[143:144], v[129:130]
	v_mul_f64 v[143:144], v[147:148], s[12:13]
	v_add_f64 v[124:125], v[131:132], v[124:125]
	v_add_f64 v[145:146], v[145:146], -v[225:226]
	v_mul_f64 v[225:226], v[147:148], s[16:17]
	v_add_f64 v[0:1], v[0:1], v[6:7]
	v_mul_f64 v[6:7], v[185:186], s[12:13]
	v_add_f64 v[90:91], v[231:232], v[90:91]
	v_add_f64 v[4:5], v[78:79], v[4:5]
	;; [unrolled: 1-line block ×3, first 2 shown]
	v_add_f64 v[179:180], v[179:180], -v[229:230]
	v_add_f64 v[183:184], v[183:184], -v[235:236]
	;; [unrolled: 1-line block ×3, first 2 shown]
	v_add_f64 v[119:120], v[129:130], v[120:121]
	v_mul_f64 v[185:186], v[155:156], s[14:15]
	v_mul_f64 v[229:230], v[151:152], s[14:15]
	;; [unrolled: 1-line block ×3, first 2 shown]
	v_add_f64 v[143:144], v[227:228], v[143:144]
	v_mul_f64 v[235:236], v[163:164], s[6:7]
	v_mul_f64 v[131:132], v[159:160], s[14:15]
	v_mul_f64 v[129:130], v[167:168], s[6:7]
	v_add_f64 v[124:125], v[124:125], v[126:127]
	v_add_f64 v[213:214], v[213:214], v[225:226]
	v_mul_f64 v[225:226], v[92:93], s[16:17]
	v_add_f64 v[6:7], v[239:240], v[6:7]
	v_add_f64 v[0:1], v[78:79], v[0:1]
	;; [unrolled: 1-line block ×3, first 2 shown]
	v_mul_f64 v[239:240], v[167:168], s[12:13]
	v_add_f64 v[119:120], v[119:120], v[122:123]
	v_add_f64 v[185:186], v[253:254], v[185:186]
	v_add_f64 v[229:230], v[229:230], -v[249:250]
	v_add_f64 v[231:232], v[243:244], v[231:232]
	v_mul_f64 v[121:122], v[159:160], s[6:7]
	v_add_f64 v[235:236], v[235:236], -v[241:242]
	v_add_f64 v[131:132], v[131:132], -v[195:196]
	v_add_f64 v[129:130], v[215:216], v[129:130]
	v_add_f64 v[123:124], v[124:125], v[139:140]
	v_mul_f64 v[125:126], v[167:168], s[14:15]
	v_add_f64 v[209:210], v[225:226], -v[209:210]
	v_mul_f64 v[225:226], v[147:148], s[14:15]
	v_add_f64 v[6:7], v[78:79], v[6:7]
	v_add_f64 v[78:79], v[78:79], v[94:95]
	;; [unrolled: 1-line block ×6, first 2 shown]
	v_mul_f64 v[177:178], v[147:148], s[0:1]
	v_mul_f64 v[147:148], v[147:148], s[6:7]
	;; [unrolled: 1-line block ×3, first 2 shown]
	v_add_f64 v[119:120], v[119:120], v[135:136]
	v_add_f64 v[0:1], v[143:144], v[0:1]
	;; [unrolled: 1-line block ×3, first 2 shown]
	v_mul_f64 v[135:136], v[167:168], s[0:1]
	v_mul_f64 v[239:240], v[159:160], s[12:13]
	v_add_f64 v[121:122], v[121:122], -v[211:212]
	v_add_f64 v[123:124], v[123:124], v[141:142]
	v_add_f64 v[125:126], v[199:200], v[125:126]
	;; [unrolled: 1-line block ×3, first 2 shown]
	v_mul_f64 v[225:226], v[92:93], s[14:15]
	v_mul_f64 v[92:93], v[92:93], s[6:7]
	v_add_f64 v[6:7], v[213:214], v[6:7]
	v_add_f64 v[76:77], v[145:146], v[76:77]
	;; [unrolled: 1-line block ×3, first 2 shown]
	v_add_f64 v[183:184], v[183:184], -v[247:248]
	v_add_f64 v[119:120], v[119:120], v[137:138]
	v_mul_f64 v[137:138], v[159:160], s[0:1]
	v_add_f64 v[135:136], v[175:176], v[135:136]
	v_add_f64 v[233:234], v[239:240], -v[233:234]
	v_add_f64 v[88:89], v[123:124], v[88:89]
	v_mul_f64 v[123:124], v[167:168], s[16:17]
	v_add_f64 v[90:91], v[197:198], v[90:91]
	v_add_f64 v[191:192], v[225:226], -v[191:192]
	s_clause 0x1
	buffer_load_dword v225, off, s[36:39], 0 offset:124
	buffer_load_dword v226, off, s[36:39], 0 offset:128
	v_add_f64 v[4:5], v[177:178], v[4:5]
	v_add_f64 v[2:3], v[183:184], v[2:3]
	;; [unrolled: 1-line block ×3, first 2 shown]
	v_add_f64 v[137:138], v[137:138], -v[173:174]
	v_add_f64 v[82:83], v[88:89], v[82:83]
	v_mul_f64 v[88:89], v[159:160], s[16:17]
	v_add_f64 v[123:124], v[165:166], v[123:124]
	v_add_f64 v[4:5], v[185:186], v[4:5]
	;; [unrolled: 1-line block ×5, first 2 shown]
	v_add_f64 v[88:89], v[88:89], -v[157:158]
	v_add_f64 v[4:5], v[231:232], v[4:5]
	v_add_f64 v[119:120], v[235:236], v[2:3]
	;; [unrolled: 1-line block ×4, first 2 shown]
	s_waitcnt vmcnt(0)
	v_add_f64 v[147:148], v[225:226], v[147:148]
	s_clause 0x1
	buffer_load_dword v225, off, s[36:39], 0 offset:116
	buffer_load_dword v226, off, s[36:39], 0 offset:120
	v_add_f64 v[78:79], v[147:148], v[78:79]
	s_waitcnt vmcnt(0)
	v_add_f64 v[92:93], v[92:93], -v[225:226]
	v_mul_f64 v[225:226], v[155:156], s[0:1]
	v_add_f64 v[92:93], v[92:93], v[94:95]
	v_add_f64 v[223:224], v[223:224], v[225:226]
	v_mul_f64 v[225:226], v[151:152], s[0:1]
	v_add_f64 v[94:95], v[191:192], v[117:118]
	v_add_f64 v[117:118], v[209:210], v[179:180]
	;; [unrolled: 1-line block ×3, first 2 shown]
	v_add_f64 v[221:222], v[225:226], -v[221:222]
	v_mul_f64 v[225:226], v[155:156], s[6:7]
	v_add_f64 v[76:77], v[221:222], v[76:77]
	v_add_f64 v[207:208], v[207:208], v[225:226]
	v_mul_f64 v[225:226], v[151:152], s[6:7]
	v_add_f64 v[6:7], v[207:208], v[6:7]
	v_add_f64 v[205:206], v[225:226], -v[205:206]
	v_mul_f64 v[225:226], v[155:156], s[16:17]
	v_mul_f64 v[155:156], v[155:156], s[12:13]
	v_add_f64 v[117:118], v[205:206], v[117:118]
	v_add_f64 v[193:194], v[193:194], v[225:226]
	v_mul_f64 v[225:226], v[151:152], s[16:17]
	v_mul_f64 v[151:152], v[151:152], s[12:13]
	v_add_f64 v[153:154], v[153:154], v[155:156]
	v_mul_f64 v[155:156], v[163:164], s[16:17]
	v_add_f64 v[90:91], v[193:194], v[90:91]
	v_add_f64 v[189:190], v[225:226], -v[189:190]
	v_add_f64 v[149:150], v[151:152], -v[149:150]
	v_mul_f64 v[151:152], v[171:172], s[16:17]
	v_add_f64 v[155:156], v[155:156], -v[217:218]
	v_mul_f64 v[217:218], v[171:172], s[0:1]
	v_add_f64 v[78:79], v[153:154], v[78:79]
	v_add_f64 v[94:95], v[189:190], v[94:95]
	;; [unrolled: 1-line block ×6, first 2 shown]
	v_mul_f64 v[217:218], v[163:164], s[0:1]
	v_add_f64 v[133:134], v[151:152], v[0:1]
	s_clause 0x2
	buffer_load_dword v0, off, s[36:39], 0 offset:48
	buffer_load_dword v4, off, s[36:39], 0 offset:108
	;; [unrolled: 1-line block ×3, first 2 shown]
	v_add_f64 v[201:202], v[217:218], -v[201:202]
	v_mul_f64 v[217:218], v[171:172], s[12:13]
	v_mul_f64 v[171:172], v[171:172], s[14:15]
	v_add_f64 v[6:7], v[203:204], v[6:7]
	v_add_f64 v[76:77], v[121:122], v[76:77]
	;; [unrolled: 1-line block ×4, first 2 shown]
	v_mul_f64 v[217:218], v[163:164], s[12:13]
	v_mul_f64 v[163:164], v[163:164], s[14:15]
	v_add_f64 v[169:170], v[169:170], v[171:172]
	v_add_f64 v[82:83], v[125:126], v[6:7]
	;; [unrolled: 1-line block ×4, first 2 shown]
	v_add_f64 v[181:182], v[217:218], -v[181:182]
	v_add_f64 v[161:162], v[163:164], -v[161:162]
	v_add_f64 v[139:140], v[169:170], v[78:79]
	v_add_f64 v[78:79], v[129:130], v[133:134]
	;; [unrolled: 1-line block ×8, first 2 shown]
	s_waitcnt vmcnt(2)
	v_mul_u32_u24_e32 v127, 0xb0, v0
	s_waitcnt vmcnt(0)
	v_add_f64 v[94:95], v[141:142], v[4:5]
	s_clause 0x1
	buffer_load_dword v4, off, s[36:39], 0 offset:100
	buffer_load_dword v5, off, s[36:39], 0 offset:104
	v_add_f64 v[0:1], v[233:234], v[119:120]
	s_waitcnt vmcnt(0)
	v_add_f64 v[92:93], v[143:144], v[4:5]
	buffer_load_dword v4, off, s[36:39], 0 offset:44 ; 4-byte Folded Reload
	s_waitcnt vmcnt(0)
	v_or_b32_e32 v4, v127, v4
	v_lshlrev_b32_e32 v4, 4, v4
	ds_write_b128 v4, v[112:115] offset:1536
	ds_write_b128 v4, v[108:111] offset:1792
	;; [unrolled: 1-line block ×9, first 2 shown]
	ds_write_b128 v4, v[92:95]
	ds_write_b128 v4, v[96:99] offset:2560
.LBB0_5:
	s_or_b32 exec_lo, exec_lo, s18
	buffer_load_dword v200, off, s[36:39], 0 offset:24 ; 4-byte Folded Reload
	s_waitcnt vmcnt(0) lgkmcnt(0)
	s_waitcnt_vscnt null, 0x0
	s_barrier
	buffer_gl0_inv
	v_mad_u64_u32 v[0:1], null, 0x50, v200, s[2:3]
	s_mov_b32 s3, 0xbfebb67a
	v_add_co_u32 v2, s0, 0xae0, v0
	v_add_co_ci_u32_e64 v3, s0, 0, v1, s0
	v_add_co_u32 v0, s0, 0x800, v0
	v_add_co_ci_u32_e64 v1, s0, 0, v1, s0
	s_mov_b32 s0, 0xe8584caa
	s_clause 0x4
	global_load_dwordx4 v[76:79], v[2:3], off offset:32
	global_load_dwordx4 v[92:95], v[0:1], off offset:800
	;; [unrolled: 1-line block ×5, first 2 shown]
	ds_read_b128 v[0:3], v255 offset:8448
	ds_read_b128 v[118:121], v255 offset:14080
	;; [unrolled: 1-line block ×5, first 2 shown]
	s_mov_b32 s1, 0x3febb67a
	s_mov_b32 s2, s0
	s_waitcnt vmcnt(4) lgkmcnt(4)
	v_mul_f64 v[4:5], v[2:3], v[78:79]
	v_mul_f64 v[6:7], v[0:1], v[78:79]
	s_waitcnt vmcnt(3) lgkmcnt(3)
	v_mul_f64 v[126:127], v[118:119], v[94:95]
	v_mul_f64 v[137:138], v[120:121], v[94:95]
	;; [unrolled: 3-line block ×3, first 2 shown]
	v_fma_f64 v[4:5], v[0:1], v[76:77], -v[4:5]
	v_fma_f64 v[6:7], v[2:3], v[76:77], v[6:7]
	v_fma_f64 v[120:121], v[120:121], v[92:93], v[126:127]
	v_fma_f64 v[117:118], v[118:119], v[92:93], -v[137:138]
	s_waitcnt vmcnt(1) lgkmcnt(1)
	v_mul_f64 v[0:1], v[131:132], v[90:91]
	v_mul_f64 v[2:3], v[129:130], v[90:91]
	s_waitcnt vmcnt(0) lgkmcnt(0)
	v_mul_f64 v[126:127], v[135:136], v[86:87]
	v_mul_f64 v[137:138], v[133:134], v[86:87]
	v_fma_f64 v[122:123], v[122:123], v[80:81], -v[139:140]
	v_fma_f64 v[124:125], v[124:125], v[80:81], v[141:142]
	v_add_f64 v[139:140], v[6:7], v[120:121]
	v_add_f64 v[141:142], v[4:5], v[117:118]
	v_fma_f64 v[129:130], v[129:130], v[88:89], -v[0:1]
	v_fma_f64 v[131:132], v[131:132], v[88:89], v[2:3]
	v_fma_f64 v[126:127], v[133:134], v[84:85], -v[126:127]
	v_fma_f64 v[133:134], v[135:136], v[84:85], v[137:138]
	v_add_f64 v[135:136], v[6:7], -v[120:121]
	v_add_f64 v[137:138], v[4:5], -v[117:118]
	ds_read_b128 v[0:3], v255
	v_add_f64 v[4:5], v[122:123], v[4:5]
	v_add_f64 v[6:7], v[124:125], v[6:7]
	v_fma_f64 v[139:140], v[139:140], -0.5, v[124:125]
	v_fma_f64 v[141:142], v[141:142], -0.5, v[122:123]
	v_add_f64 v[143:144], v[129:130], v[126:127]
	v_add_f64 v[145:146], v[131:132], v[133:134]
	v_add_f64 v[122:123], v[129:130], -v[126:127]
	v_add_f64 v[4:5], v[4:5], v[117:118]
	v_add_f64 v[6:7], v[6:7], v[120:121]
	v_fma_f64 v[147:148], v[137:138], s[2:3], v[139:140]
	v_fma_f64 v[149:150], v[135:136], s[2:3], v[141:142]
	;; [unrolled: 1-line block ×4, first 2 shown]
	s_waitcnt lgkmcnt(0)
	v_add_f64 v[139:140], v[0:1], v[129:130]
	v_add_f64 v[141:142], v[131:132], -v[133:134]
	v_add_f64 v[131:132], v[2:3], v[131:132]
	v_fma_f64 v[0:1], v[143:144], -0.5, v[0:1]
	v_fma_f64 v[2:3], v[145:146], -0.5, v[2:3]
	v_mul_f64 v[124:125], v[147:148], s[0:1]
	v_mul_f64 v[129:130], v[149:150], -0.5
	v_mul_f64 v[143:144], v[135:136], s[2:3]
	v_mul_f64 v[145:146], v[137:138], -0.5
	v_add_f64 v[126:127], v[139:140], v[126:127]
	v_add_f64 v[131:132], v[131:132], v[133:134]
	v_fma_f64 v[133:134], v[141:142], s[0:1], v[0:1]
	v_fma_f64 v[139:140], v[141:142], s[2:3], v[0:1]
	;; [unrolled: 1-line block ×4, first 2 shown]
	v_fma_f64 v[135:136], v[135:136], 0.5, v[124:125]
	v_fma_f64 v[137:138], v[137:138], s[0:1], v[129:130]
	v_fma_f64 v[143:144], v[147:148], 0.5, v[143:144]
	v_fma_f64 v[145:146], v[149:150], s[2:3], v[145:146]
	v_add_f64 v[0:1], v[126:127], v[4:5]
	v_add_f64 v[118:119], v[126:127], -v[4:5]
	v_add_f64 v[2:3], v[131:132], v[6:7]
	v_add_f64 v[120:121], v[131:132], -v[6:7]
	v_add_co_u32 v147, s0, 0x4000, v128
	v_add_co_ci_u32_e64 v148, s0, 0, v116, s0
	v_add_co_u32 v4, s0, 0x6000, v128
	v_add_co_ci_u32_e64 v5, s0, 0, v116, s0
	;; [unrolled: 2-line block ×3, first 2 shown]
	v_add_co_u32 v126, s0, 0x6800, v128
	v_add_f64 v[122:123], v[133:134], v[135:136]
	v_add_f64 v[129:130], v[139:140], v[137:138]
	;; [unrolled: 1-line block ×4, first 2 shown]
	v_add_f64 v[133:134], v[133:134], -v[135:136]
	v_add_f64 v[135:136], v[141:142], -v[143:144]
	;; [unrolled: 1-line block ×4, first 2 shown]
	v_add_co_ci_u32_e64 v127, s0, 0, v116, s0
	v_add_co_u32 v141, s0, 0x5800, v128
	v_add_co_ci_u32_e64 v142, s0, 0, v116, s0
	ds_write_b128 v255, v[0:3]
	ds_write_b128 v255, v[118:121] offset:8448
	ds_write_b128 v255, v[122:125] offset:2816
	;; [unrolled: 1-line block ×5, first 2 shown]
	s_waitcnt lgkmcnt(0)
	s_barrier
	buffer_gl0_inv
	s_clause 0x2
	global_load_dwordx4 v[0:3], v[147:148], off offset:512
	global_load_dwordx4 v[118:121], v[4:5], off offset:768
	;; [unrolled: 1-line block ×3, first 2 shown]
	v_add_co_u32 v4, s0, 0x7800, v128
	v_add_co_ci_u32_e64 v5, s0, 0, v116, s0
	s_clause 0x2
	global_load_dwordx4 v[126:129], v[126:127], off offset:1536
	global_load_dwordx4 v[130:133], v[141:142], off
	global_load_dwordx4 v[134:137], v[4:5], off offset:256
	ds_read_b128 v[138:141], v255
	ds_read_b128 v[142:145], v255 offset:8448
	ds_read_b128 v[146:149], v255 offset:2816
	;; [unrolled: 1-line block ×5, first 2 shown]
	s_waitcnt vmcnt(5) lgkmcnt(5)
	v_mul_f64 v[4:5], v[140:141], v[2:3]
	v_mul_f64 v[2:3], v[138:139], v[2:3]
	s_waitcnt vmcnt(4) lgkmcnt(4)
	v_mul_f64 v[6:7], v[144:145], v[120:121]
	v_mul_f64 v[116:117], v[142:143], v[120:121]
	;; [unrolled: 3-line block ×6, first 2 shown]
	v_fma_f64 v[136:137], v[138:139], v[0:1], -v[4:5]
	v_fma_f64 v[138:139], v[140:141], v[0:1], v[2:3]
	v_fma_f64 v[0:1], v[142:143], v[118:119], -v[6:7]
	v_fma_f64 v[2:3], v[144:145], v[118:119], v[116:117]
	;; [unrolled: 2-line block ×6, first 2 shown]
	ds_write_b128 v255, v[136:139]
	ds_write_b128 v255, v[0:3] offset:8448
	ds_write_b128 v255, v[118:121] offset:2816
	;; [unrolled: 1-line block ×5, first 2 shown]
	s_waitcnt lgkmcnt(0)
	s_barrier
	buffer_gl0_inv
	ds_read_b128 v[0:3], v255 offset:8448
	ds_read_b128 v[118:121], v255
	ds_read_b128 v[122:125], v255 offset:2816
	ds_read_b128 v[126:129], v255 offset:11264
	;; [unrolled: 1-line block ×4, first 2 shown]
	s_waitcnt lgkmcnt(0)
	s_barrier
	buffer_gl0_inv
	buffer_load_dword v4, off, s[36:39], 0 offset:60 ; 4-byte Folded Reload
	v_add_f64 v[0:1], v[118:119], -v[0:1]
	v_add_f64 v[2:3], v[120:121], -v[2:3]
	;; [unrolled: 1-line block ×6, first 2 shown]
	v_fma_f64 v[118:119], v[118:119], 2.0, -v[0:1]
	v_fma_f64 v[120:121], v[120:121], 2.0, -v[2:3]
	;; [unrolled: 1-line block ×6, first 2 shown]
	s_waitcnt vmcnt(0)
	ds_write_b128 v4, v[0:3] offset:16
	ds_write_b128 v4, v[118:121]
	buffer_load_dword v0, off, s[36:39], 0 offset:56 ; 4-byte Folded Reload
	s_waitcnt vmcnt(0)
	ds_write_b128 v0, v[122:125]
	ds_write_b128 v0, v[126:129] offset:16
	buffer_load_dword v0, off, s[36:39], 0 offset:52 ; 4-byte Folded Reload
	s_waitcnt vmcnt(0)
	ds_write_b128 v0, v[130:133]
	ds_write_b128 v0, v[134:137] offset:16
	s_waitcnt lgkmcnt(0)
	s_barrier
	buffer_gl0_inv
	ds_read_b128 v[0:3], v255 offset:8448
	ds_read_b128 v[118:121], v255 offset:11264
	;; [unrolled: 1-line block ×4, first 2 shown]
	ds_read_b128 v[130:133], v255
	ds_read_b128 v[134:137], v255 offset:2816
	s_waitcnt lgkmcnt(0)
	s_barrier
	buffer_gl0_inv
	v_mul_f64 v[4:5], v[26:27], v[2:3]
	v_mul_f64 v[116:117], v[26:27], v[120:121]
	v_mul_f64 v[6:7], v[26:27], v[0:1]
	v_mul_f64 v[138:139], v[26:27], v[118:119]
	v_mul_f64 v[140:141], v[26:27], v[124:125]
	v_mul_f64 v[26:27], v[26:27], v[122:123]
	v_fma_f64 v[0:1], v[24:25], v[0:1], v[4:5]
	v_fma_f64 v[4:5], v[24:25], v[118:119], v[116:117]
	v_fma_f64 v[2:3], v[24:25], v[2:3], -v[6:7]
	v_fma_f64 v[6:7], v[24:25], v[120:121], -v[138:139]
	v_fma_f64 v[116:117], v[24:25], v[122:123], v[140:141]
	v_fma_f64 v[120:121], v[24:25], v[124:125], -v[26:27]
	v_add_f64 v[0:1], v[130:131], -v[0:1]
	v_add_f64 v[24:25], v[134:135], -v[4:5]
	buffer_load_dword v4, off, s[36:39], 0 offset:72 ; 4-byte Folded Reload
	v_add_f64 v[2:3], v[132:133], -v[2:3]
	v_add_f64 v[26:27], v[136:137], -v[6:7]
	;; [unrolled: 1-line block ×4, first 2 shown]
	v_fma_f64 v[122:123], v[130:131], 2.0, -v[0:1]
	v_fma_f64 v[130:131], v[134:135], 2.0, -v[24:25]
	v_fma_f64 v[124:125], v[132:133], 2.0, -v[2:3]
	v_fma_f64 v[132:133], v[136:137], 2.0, -v[26:27]
	v_fma_f64 v[126:127], v[126:127], 2.0, -v[118:119]
	v_fma_f64 v[128:129], v[128:129], 2.0, -v[120:121]
	s_waitcnt vmcnt(0)
	ds_write_b128 v4, v[0:3] offset:32
	ds_write_b128 v4, v[122:125]
	buffer_load_dword v0, off, s[36:39], 0 offset:68 ; 4-byte Folded Reload
	s_waitcnt vmcnt(0)
	ds_write_b128 v0, v[130:133]
	ds_write_b128 v0, v[24:27] offset:32
	buffer_load_dword v0, off, s[36:39], 0 offset:64 ; 4-byte Folded Reload
	s_waitcnt vmcnt(0)
	ds_write_b128 v0, v[126:129]
	ds_write_b128 v0, v[118:121] offset:32
	s_waitcnt lgkmcnt(0)
	s_barrier
	buffer_gl0_inv
	ds_read_b128 v[0:3], v255 offset:8448
	ds_read_b128 v[24:27], v255 offset:11264
	;; [unrolled: 1-line block ×4, first 2 shown]
	ds_read_b128 v[126:129], v255
	ds_read_b128 v[130:133], v255 offset:2816
	s_waitcnt lgkmcnt(0)
	s_barrier
	buffer_gl0_inv
	v_mul_f64 v[4:5], v[34:35], v[2:3]
	v_mul_f64 v[116:117], v[34:35], v[26:27]
	;; [unrolled: 1-line block ×6, first 2 shown]
	v_fma_f64 v[0:1], v[32:33], v[0:1], v[4:5]
	v_fma_f64 v[4:5], v[32:33], v[24:25], v[116:117]
	v_fma_f64 v[2:3], v[32:33], v[2:3], -v[6:7]
	v_fma_f64 v[6:7], v[32:33], v[26:27], -v[134:135]
	v_fma_f64 v[116:117], v[32:33], v[118:119], v[136:137]
	v_fma_f64 v[34:35], v[32:33], v[120:121], -v[34:35]
	v_add_f64 v[0:1], v[126:127], -v[0:1]
	v_add_f64 v[24:25], v[130:131], -v[4:5]
	buffer_load_dword v4, off, s[36:39], 0 offset:96 ; 4-byte Folded Reload
	v_add_f64 v[2:3], v[128:129], -v[2:3]
	v_add_f64 v[26:27], v[132:133], -v[6:7]
	;; [unrolled: 1-line block ×4, first 2 shown]
	v_fma_f64 v[118:119], v[126:127], 2.0, -v[0:1]
	v_fma_f64 v[126:127], v[130:131], 2.0, -v[24:25]
	;; [unrolled: 1-line block ×6, first 2 shown]
	s_waitcnt vmcnt(0)
	ds_write_b128 v4, v[0:3] offset:64
	ds_write_b128 v4, v[118:121]
	buffer_load_dword v0, off, s[36:39], 0 offset:88 ; 4-byte Folded Reload
	s_waitcnt vmcnt(0)
	ds_write_b128 v0, v[126:129]
	ds_write_b128 v0, v[24:27] offset:64
	buffer_load_dword v0, off, s[36:39], 0 offset:80 ; 4-byte Folded Reload
	s_waitcnt vmcnt(0)
	ds_write_b128 v0, v[122:125]
	ds_write_b128 v0, v[32:35] offset:64
	s_waitcnt lgkmcnt(0)
	s_barrier
	buffer_gl0_inv
	ds_read_b128 v[0:3], v255 offset:8448
	ds_read_b128 v[24:27], v255 offset:11264
	;; [unrolled: 1-line block ×4, first 2 shown]
	ds_read_b128 v[116:119], v255
	ds_read_b128 v[128:131], v255 offset:2816
	s_waitcnt lgkmcnt(0)
	s_barrier
	buffer_gl0_inv
	v_mul_f64 v[4:5], v[38:39], v[2:3]
	v_mul_f64 v[6:7], v[38:39], v[0:1]
	v_mul_f64 v[124:125], v[38:39], v[26:27]
	v_mul_f64 v[132:133], v[38:39], v[34:35]
	v_mul_f64 v[126:127], v[38:39], v[24:25]
	v_mul_f64 v[38:39], v[38:39], v[32:33]
	v_fma_f64 v[0:1], v[36:37], v[0:1], v[4:5]
	v_fma_f64 v[2:3], v[36:37], v[2:3], -v[6:7]
	v_fma_f64 v[4:5], v[36:37], v[24:25], v[124:125]
	v_fma_f64 v[24:25], v[36:37], v[32:33], v[132:133]
	v_fma_f64 v[6:7], v[36:37], v[26:27], -v[126:127]
	v_fma_f64 v[26:27], v[36:37], v[34:35], -v[38:39]
	v_add_f64 v[32:33], v[116:117], -v[0:1]
	buffer_load_dword v0, off, s[36:39], 0 offset:92 ; 4-byte Folded Reload
	v_add_f64 v[34:35], v[118:119], -v[2:3]
	v_add_f64 v[124:125], v[120:121], -v[24:25]
	v_add_f64 v[36:37], v[128:129], -v[4:5]
	v_add_f64 v[126:127], v[122:123], -v[26:27]
	v_add_f64 v[38:39], v[130:131], -v[6:7]
	v_fma_f64 v[24:25], v[116:117], 2.0, -v[32:33]
	v_fma_f64 v[26:27], v[118:119], 2.0, -v[34:35]
	;; [unrolled: 1-line block ×6, first 2 shown]
	s_waitcnt vmcnt(0)
	ds_write_b128 v0, v[32:35] offset:128
	ds_write_b128 v0, v[24:27]
	buffer_load_dword v0, off, s[36:39], 0 offset:84 ; 4-byte Folded Reload
	s_waitcnt vmcnt(0)
	ds_write_b128 v0, v[116:119]
	ds_write_b128 v0, v[36:39] offset:128
	buffer_load_dword v0, off, s[36:39], 0 offset:76 ; 4-byte Folded Reload
	s_waitcnt vmcnt(0)
	ds_write_b128 v0, v[120:123]
	ds_write_b128 v0, v[124:127] offset:128
	s_waitcnt lgkmcnt(0)
	s_barrier
	buffer_gl0_inv
	s_and_saveexec_b32 s0, vcc_lo
	s_cbranch_execz .LBB0_7
; %bb.6:
	ds_read_b128 v[24:27], v255
	ds_read_b128 v[32:35], v255 offset:1536
	ds_read_b128 v[116:119], v255 offset:3072
	;; [unrolled: 1-line block ×10, first 2 shown]
.LBB0_7:
	s_or_b32 exec_lo, exec_lo, s0
	s_waitcnt lgkmcnt(0)
	s_barrier
	buffer_gl0_inv
	s_and_saveexec_b32 s33, vcc_lo
	s_cbranch_execz .LBB0_9
; %bb.8:
	v_mul_f64 v[0:1], v[30:31], v[34:35]
	v_mul_f64 v[2:3], v[50:51], v[98:99]
	;; [unrolled: 1-line block ×16, first 2 shown]
	s_mov_b32 s22, 0xfd768dbf
	s_mov_b32 s23, 0xbfd207e7
	v_mul_f64 v[142:143], v[46:47], v[36:37]
	s_mov_b32 s18, 0xbb3a28a1
	s_mov_b32 s14, 0xf8bb580b
	;; [unrolled: 1-line block ×3, first 2 shown]
	v_fma_f64 v[0:1], v[28:29], v[32:33], v[0:1]
	v_fma_f64 v[30:31], v[48:49], v[96:97], v[2:3]
	v_mul_f64 v[2:3], v[46:47], v[38:39]
	v_mul_f64 v[96:97], v[74:75], v[106:107]
	v_fma_f64 v[54:55], v[60:61], v[124:125], v[4:5]
	v_fma_f64 v[50:51], v[64:65], v[112:113], v[6:7]
	;; [unrolled: 1-line block ×4, first 2 shown]
	v_fma_f64 v[6:7], v[28:29], v[34:35], -v[138:139]
	v_fma_f64 v[28:29], v[48:49], v[98:99], -v[140:141]
	;; [unrolled: 1-line block ×3, first 2 shown]
	v_mul_f64 v[74:75], v[74:75], v[104:105]
	v_fma_f64 v[48:49], v[64:65], v[114:115], -v[66:67]
	v_fma_f64 v[42:43], v[68:69], v[108:109], v[130:131]
	v_fma_f64 v[46:47], v[68:69], v[110:111], -v[70:71]
	v_fma_f64 v[40:41], v[40:41], v[118:119], -v[144:145]
	;; [unrolled: 1-line block ×3, first 2 shown]
	s_mov_b32 s19, 0xbfe82f19
	s_mov_b32 s15, 0x3fe14ced
	;; [unrolled: 1-line block ×3, first 2 shown]
	v_fma_f64 v[64:65], v[52:53], v[120:121], v[128:129]
	s_mov_b32 s16, 0x43842ef
	s_mov_b32 s2, 0x7f775887
	v_add_f64 v[62:63], v[0:1], -v[30:31]
	v_fma_f64 v[2:3], v[44:45], v[36:37], v[2:3]
	v_fma_f64 v[36:37], v[72:73], v[104:105], v[96:97]
	v_fma_f64 v[44:45], v[44:45], v[38:39], -v[142:143]
	v_add_f64 v[114:115], v[0:1], v[30:31]
	s_mov_b32 s12, 0x8764f0ba
	v_add_f64 v[56:57], v[4:5], -v[32:33]
	s_mov_b32 s17, 0xbfefac9e
	v_add_f64 v[58:59], v[6:7], -v[28:29]
	v_add_f64 v[66:67], v[6:7], v[28:29]
	v_fma_f64 v[38:39], v[72:73], v[106:107], -v[74:75]
	s_mov_b32 s3, 0xbfe4f49e
	s_mov_b32 s13, 0x3feaeb8c
	;; [unrolled: 1-line block ×4, first 2 shown]
	v_add_f64 v[102:103], v[40:41], -v[34:35]
	v_add_f64 v[110:111], v[40:41], v[34:35]
	v_fma_f64 v[52:53], v[52:53], v[122:123], -v[132:133]
	v_add_f64 v[126:127], v[4:5], v[32:33]
	v_add_f64 v[72:73], v[64:65], -v[42:43]
	s_mov_b32 s0, 0x640f44db
	s_mov_b32 s1, 0xbfc2375f
	v_mul_f64 v[68:69], v[62:63], s[22:23]
	v_mul_f64 v[136:137], v[62:63], s[18:19]
	v_add_f64 v[74:75], v[2:3], -v[36:37]
	v_mul_f64 v[170:171], v[62:63], s[16:17]
	s_mov_b32 s25, 0x3fed1bb4
	s_mov_b32 s24, 0x8eee2c13
	v_mul_f64 v[116:117], v[56:57], s[14:15]
	v_mul_f64 v[152:153], v[56:57], s[26:27]
	;; [unrolled: 1-line block ×4, first 2 shown]
	v_add_f64 v[100:101], v[44:45], -v[38:39]
	v_add_f64 v[108:109], v[44:45], v[38:39]
	v_mul_f64 v[182:183], v[58:59], s[16:17]
	s_mov_b32 s29, 0xbfe14ced
	s_mov_b32 s31, 0x3fd207e7
	v_mul_f64 v[142:143], v[102:103], s[14:15]
	s_mov_b32 s28, s14
	s_mov_b32 s30, s22
	v_add_f64 v[70:71], v[54:55], -v[50:51]
	v_add_f64 v[98:99], v[52:53], -v[46:47]
	v_add_f64 v[106:107], v[52:53], v[46:47]
	v_add_f64 v[122:123], v[2:3], v[36:37]
	v_fma_f64 v[124:125], v[66:67], s[6:7], v[68:69]
	v_fma_f64 v[68:69], v[66:67], s[6:7], -v[68:69]
	v_mul_f64 v[132:133], v[74:75], s[18:19]
	v_fma_f64 v[174:175], v[66:67], s[2:3], v[136:137]
	v_add_f64 v[6:7], v[26:27], v[6:7]
	v_add_f64 v[0:1], v[24:25], v[0:1]
	v_fma_f64 v[156:157], v[110:111], s[12:13], v[116:117]
	v_mul_f64 v[130:131], v[72:73], s[24:25]
	v_fma_f64 v[158:159], v[114:115], s[6:7], -v[118:119]
	v_fma_f64 v[118:119], v[114:115], s[6:7], v[118:119]
	v_mul_f64 v[140:141], v[100:101], s[18:19]
	v_mul_f64 v[148:149], v[74:75], s[28:29]
	;; [unrolled: 1-line block ×5, first 2 shown]
	v_fma_f64 v[186:187], v[126:127], s[12:13], -v[142:143]
	v_fma_f64 v[188:189], v[114:115], s[2:3], -v[150:151]
	;; [unrolled: 1-line block ×3, first 2 shown]
	v_fma_f64 v[142:143], v[126:127], s[12:13], v[142:143]
	v_fma_f64 v[136:137], v[66:67], s[2:3], -v[136:137]
	v_fma_f64 v[150:151], v[114:115], s[2:3], v[150:151]
	v_fma_f64 v[190:191], v[110:111], s[0:1], v[152:153]
	v_add_f64 v[124:125], v[26:27], v[124:125]
	v_add_f64 v[68:69], v[26:27], v[68:69]
	v_fma_f64 v[184:185], v[108:109], s[2:3], v[132:133]
	v_add_f64 v[174:175], v[26:27], v[174:175]
	v_fma_f64 v[196:197], v[114:115], s[0:1], -v[182:183]
	s_mov_b32 s20, 0xd9c712b6
	s_mov_b32 s21, 0x3fda9628
	v_add_f64 v[104:105], v[60:61], v[48:49]
	v_add_f64 v[158:159], v[24:25], v[158:159]
	;; [unrolled: 1-line block ×4, first 2 shown]
	v_mul_f64 v[128:129], v[70:71], s[16:17]
	v_mul_f64 v[138:139], v[98:99], s[24:25]
	;; [unrolled: 1-line block ×5, first 2 shown]
	v_add_f64 v[6:7], v[6:7], v[40:41]
	v_add_f64 v[0:1], v[0:1], v[4:5]
	v_fma_f64 v[40:41], v[106:107], s[20:21], v[130:131]
	v_fma_f64 v[194:195], v[122:123], s[2:3], -v[140:141]
	v_fma_f64 v[132:133], v[108:109], s[2:3], -v[132:133]
	v_fma_f64 v[140:141], v[122:123], s[2:3], v[140:141]
	v_add_f64 v[124:125], v[156:157], v[124:125]
	v_fma_f64 v[156:157], v[66:67], s[0:1], v[170:171]
	v_fma_f64 v[198:199], v[126:127], s[0:1], -v[164:165]
	v_fma_f64 v[152:153], v[110:111], s[0:1], -v[152:153]
	v_fma_f64 v[164:165], v[126:127], s[0:1], v[164:165]
	v_add_f64 v[136:137], v[26:27], v[136:137]
	v_add_f64 v[68:69], v[116:117], v[68:69]
	;; [unrolled: 1-line block ×5, first 2 shown]
	v_fma_f64 v[186:187], v[126:127], s[6:7], -v[180:181]
	v_add_f64 v[190:191], v[24:25], v[196:197]
	v_add_f64 v[96:97], v[60:61], -v[48:49]
	v_mul_f64 v[146:147], v[72:73], s[22:23]
	v_mul_f64 v[160:161], v[98:99], s[22:23]
	v_mul_f64 v[166:167], v[72:73], s[28:29]
	v_mul_f64 v[176:177], v[98:99], s[28:29]
	v_fma_f64 v[4:5], v[104:105], s[0:1], v[128:129]
	v_add_f64 v[188:189], v[24:25], v[188:189]
	v_fma_f64 v[142:143], v[120:121], s[20:21], -v[138:139]
	v_fma_f64 v[130:131], v[106:107], s[20:21], -v[130:131]
	v_fma_f64 v[138:139], v[120:121], s[20:21], v[138:139]
	v_add_f64 v[118:119], v[184:185], v[124:125]
	v_add_f64 v[124:125], v[24:25], v[150:151]
	v_fma_f64 v[150:151], v[110:111], s[6:7], v[172:173]
	v_add_f64 v[156:157], v[26:27], v[156:157]
	v_fma_f64 v[184:185], v[108:109], s[12:13], v[148:149]
	v_fma_f64 v[196:197], v[122:123], s[12:13], -v[162:163]
	v_fma_f64 v[148:149], v[108:109], s[12:13], -v[148:149]
	v_fma_f64 v[162:163], v[122:123], s[12:13], v[162:163]
	v_add_f64 v[136:137], v[152:153], v[136:137]
	v_add_f64 v[152:153], v[194:195], v[158:159]
	;; [unrolled: 1-line block ×4, first 2 shown]
	v_fma_f64 v[140:141], v[114:115], s[0:1], v[182:183]
	v_fma_f64 v[158:159], v[108:109], s[20:21], v[168:169]
	v_add_f64 v[182:183], v[186:187], v[190:191]
	v_add_f64 v[6:7], v[6:7], v[44:45]
	;; [unrolled: 1-line block ×3, first 2 shown]
	v_mul_f64 v[144:145], v[70:71], s[24:25]
	v_mul_f64 v[154:155], v[96:97], s[24:25]
	s_mov_b32 s25, 0xbfed1bb4
	v_add_f64 v[112:113], v[54:55], v[50:51]
	v_add_f64 v[188:189], v[198:199], v[188:189]
	;; [unrolled: 1-line block ×4, first 2 shown]
	v_fma_f64 v[170:171], v[66:67], s[0:1], -v[170:171]
	v_add_f64 v[150:151], v[150:151], v[156:157]
	v_add_f64 v[164:165], v[184:185], v[174:175]
	v_fma_f64 v[174:175], v[122:123], s[20:21], -v[178:179]
	v_fma_f64 v[132:133], v[106:107], s[6:7], v[146:147]
	v_fma_f64 v[156:157], v[120:121], s[6:7], -v[160:161]
	v_fma_f64 v[146:147], v[106:107], s[6:7], -v[146:147]
	v_fma_f64 v[160:161], v[120:121], s[6:7], v[160:161]
	v_add_f64 v[136:137], v[148:149], v[136:137]
	v_add_f64 v[142:143], v[142:143], v[152:153]
	;; [unrolled: 1-line block ×5, first 2 shown]
	v_fma_f64 v[138:139], v[106:107], s[12:13], v[166:167]
	v_mul_f64 v[148:149], v[62:63], s[24:25]
	v_fma_f64 v[152:153], v[120:121], s[12:13], -v[176:177]
	v_mul_f64 v[62:63], v[62:63], s[28:29]
	v_add_f64 v[6:7], v[6:7], v[52:53]
	v_add_f64 v[0:1], v[0:1], v[64:65]
	v_mul_f64 v[52:53], v[58:59], s[28:29]
	v_add_f64 v[2:3], v[4:5], v[40:41]
	v_add_f64 v[4:5], v[162:163], v[118:119]
	v_fma_f64 v[118:119], v[126:127], s[6:7], v[180:181]
	v_add_f64 v[140:141], v[158:159], v[150:151]
	v_fma_f64 v[172:173], v[110:111], s[6:7], -v[172:173]
	v_add_f64 v[158:159], v[174:175], v[182:183]
	v_add_f64 v[44:45], v[196:197], v[188:189]
	;; [unrolled: 1-line block ×4, first 2 shown]
	v_fma_f64 v[162:163], v[112:113], s[20:21], -v[154:155]
	v_mul_f64 v[58:59], v[58:59], s[24:25]
	v_add_f64 v[136:137], v[146:147], v[136:137]
	v_fma_f64 v[146:147], v[112:113], s[20:21], v[154:155]
	v_fma_f64 v[154:155], v[122:123], s[20:21], v[178:179]
	v_mul_f64 v[164:165], v[102:103], s[18:19]
	v_mul_f64 v[102:103], v[102:103], s[24:25]
	v_fma_f64 v[124:125], v[104:105], s[20:21], v[144:145]
	v_fma_f64 v[64:65], v[104:105], s[20:21], -v[144:145]
	v_fma_f64 v[144:145], v[108:109], s[20:21], -v[168:169]
	v_add_f64 v[6:7], v[6:7], v[60:61]
	v_add_f64 v[0:1], v[0:1], v[54:55]
	v_fma_f64 v[54:55], v[114:115], s[12:13], v[52:53]
	v_fma_f64 v[52:53], v[114:115], s[12:13], -v[52:53]
	v_add_f64 v[4:5], v[160:161], v[4:5]
	v_add_f64 v[118:119], v[118:119], v[130:131]
	;; [unrolled: 1-line block ×3, first 2 shown]
	v_mul_f64 v[140:141], v[56:57], s[18:19]
	v_fma_f64 v[160:161], v[66:67], s[20:21], -v[148:149]
	v_add_f64 v[152:153], v[152:153], v[158:159]
	v_mul_f64 v[56:57], v[56:57], s[24:25]
	v_fma_f64 v[158:159], v[66:67], s[12:13], -v[62:63]
	v_add_f64 v[44:45], v[156:157], v[44:45]
	v_add_f64 v[156:157], v[172:173], v[170:171]
	v_fma_f64 v[60:61], v[114:115], s[20:21], v[58:59]
	v_fma_f64 v[148:149], v[66:67], s[20:21], v[148:149]
	v_fma_f64 v[58:59], v[114:115], s[20:21], -v[58:59]
	v_fma_f64 v[62:63], v[66:67], s[12:13], v[62:63]
	v_mul_f64 v[114:115], v[74:75], s[30:31]
	v_mul_f64 v[74:75], v[74:75], s[16:17]
	v_fma_f64 v[174:175], v[126:127], s[20:21], v[102:103]
	v_fma_f64 v[170:171], v[126:127], s[2:3], v[164:165]
	v_add_f64 v[6:7], v[6:7], v[48:49]
	v_add_f64 v[0:1], v[0:1], v[50:51]
	;; [unrolled: 1-line block ×3, first 2 shown]
	v_mul_f64 v[134:135], v[96:97], s[16:17]
	v_mul_f64 v[40:41], v[70:71], s[18:19]
	v_add_f64 v[66:67], v[154:155], v[118:119]
	v_mul_f64 v[118:119], v[100:101], s[30:31]
	v_fma_f64 v[154:155], v[110:111], s[2:3], -v[140:141]
	v_add_f64 v[160:161], v[26:27], v[160:161]
	v_mul_f64 v[100:101], v[100:101], s[16:17]
	v_fma_f64 v[172:173], v[110:111], s[20:21], -v[56:57]
	v_add_f64 v[158:159], v[26:27], v[158:159]
	v_fma_f64 v[54:55], v[110:111], s[2:3], v[140:141]
	v_fma_f64 v[140:141], v[126:127], s[2:3], -v[164:165]
	v_add_f64 v[50:51], v[24:25], v[60:61]
	v_add_f64 v[60:61], v[26:27], v[148:149]
	;; [unrolled: 1-line block ×3, first 2 shown]
	v_fma_f64 v[56:57], v[110:111], s[20:21], v[56:57]
	v_add_f64 v[26:27], v[26:27], v[62:63]
	v_fma_f64 v[62:63], v[126:127], s[20:21], -v[102:103]
	v_add_f64 v[24:25], v[24:25], v[52:53]
	v_mul_f64 v[52:53], v[72:73], s[26:27]
	v_mul_f64 v[102:103], v[98:99], s[26:27]
	;; [unrolled: 1-line block ×4, first 2 shown]
	v_add_f64 v[0:1], v[0:1], v[42:43]
	v_add_f64 v[42:43], v[174:175], v[48:49]
	v_fma_f64 v[110:111], v[108:109], s[6:7], -v[114:115]
	v_fma_f64 v[148:149], v[122:123], s[6:7], v[118:119]
	v_add_f64 v[6:7], v[6:7], v[46:47]
	v_add_f64 v[126:127], v[154:155], v[160:161]
	v_fma_f64 v[154:155], v[108:109], s[0:1], -v[74:75]
	v_fma_f64 v[160:161], v[122:123], s[0:1], v[100:101]
	v_add_f64 v[158:159], v[172:173], v[158:159]
	v_fma_f64 v[48:49], v[108:109], s[6:7], v[114:115]
	v_mul_f64 v[150:151], v[96:97], s[18:19]
	v_add_f64 v[46:47], v[170:171], v[50:51]
	v_add_f64 v[50:51], v[54:55], v[60:61]
	v_fma_f64 v[54:55], v[122:123], s[6:7], -v[118:119]
	v_fma_f64 v[60:61], v[108:109], s[0:1], v[74:75]
	v_add_f64 v[26:27], v[56:57], v[26:27]
	v_fma_f64 v[56:57], v[122:123], s[0:1], -v[100:101]
	v_add_f64 v[58:59], v[140:141], v[58:59]
	v_add_f64 v[24:25], v[62:63], v[24:25]
	v_fma_f64 v[100:101], v[106:107], s[0:1], -v[52:53]
	v_fma_f64 v[114:115], v[106:107], s[2:3], -v[72:73]
	v_fma_f64 v[122:123], v[120:121], s[2:3], v[98:99]
	v_add_f64 v[0:1], v[0:1], v[36:37]
	v_mul_f64 v[62:63], v[70:71], s[14:15]
	v_mul_f64 v[74:75], v[96:97], s[14:15]
	;; [unrolled: 1-line block ×3, first 2 shown]
	v_add_f64 v[6:7], v[6:7], v[38:39]
	v_add_f64 v[108:109], v[110:111], v[126:127]
	v_fma_f64 v[110:111], v[120:121], s[0:1], v[102:103]
	v_add_f64 v[36:37], v[160:161], v[42:43]
	v_add_f64 v[118:119], v[154:155], v[158:159]
	v_mul_f64 v[96:97], v[96:97], s[22:23]
	v_add_f64 v[144:145], v[144:145], v[156:157]
	v_add_f64 v[38:39], v[148:149], v[46:47]
	;; [unrolled: 1-line block ×3, first 2 shown]
	v_fma_f64 v[48:49], v[120:121], s[0:1], -v[102:103]
	v_fma_f64 v[156:157], v[120:121], s[12:13], v[176:177]
	v_fma_f64 v[166:167], v[106:107], s[12:13], -v[166:167]
	v_fma_f64 v[42:43], v[106:107], s[0:1], v[52:53]
	v_add_f64 v[50:51], v[54:55], v[58:59]
	v_fma_f64 v[52:53], v[106:107], s[2:3], v[72:73]
	v_add_f64 v[26:27], v[60:61], v[26:27]
	v_fma_f64 v[54:55], v[120:121], s[2:3], -v[98:99]
	v_add_f64 v[24:25], v[56:57], v[24:25]
	v_fma_f64 v[130:131], v[104:105], s[2:3], v[40:41]
	v_fma_f64 v[40:41], v[104:105], s[2:3], -v[40:41]
	v_fma_f64 v[98:99], v[112:113], s[12:13], v[74:75]
	v_fma_f64 v[58:59], v[112:113], s[2:3], v[150:151]
	v_add_f64 v[6:7], v[6:7], v[34:35]
	v_add_f64 v[72:73], v[100:101], v[108:109]
	;; [unrolled: 1-line block ×3, first 2 shown]
	v_fma_f64 v[100:101], v[104:105], s[6:7], -v[70:71]
	v_add_f64 v[102:103], v[114:115], v[118:119]
	v_add_f64 v[114:115], v[122:123], v[36:37]
	;; [unrolled: 1-line block ×3, first 2 shown]
	s_clause 0x1
	buffer_load_dword v4, off, s[36:39], 0 offset:48
	buffer_load_dword v5, off, s[36:39], 0 offset:44
	v_fma_f64 v[106:107], v[112:113], s[6:7], v[96:97]
	v_add_f64 v[60:61], v[156:157], v[66:67]
	v_fma_f64 v[66:67], v[104:105], s[12:13], -v[62:63]
	v_add_f64 v[110:111], v[110:111], v[38:39]
	v_add_f64 v[56:57], v[166:167], v[144:145]
	v_fma_f64 v[192:193], v[112:113], s[0:1], -v[134:135]
	v_fma_f64 v[128:129], v[104:105], s[0:1], -v[128:129]
	v_fma_f64 v[134:135], v[112:113], s[0:1], v[134:135]
	v_fma_f64 v[168:169], v[112:113], s[2:3], -v[150:151]
	v_fma_f64 v[62:63], v[104:105], s[12:13], v[62:63]
	v_add_f64 v[118:119], v[42:43], v[46:47]
	v_fma_f64 v[74:75], v[112:113], s[12:13], -v[74:75]
	v_add_f64 v[120:121], v[48:49], v[50:51]
	v_fma_f64 v[70:71], v[104:105], s[6:7], v[70:71]
	v_add_f64 v[104:105], v[52:53], v[26:27]
	v_fma_f64 v[96:97], v[112:113], s[6:7], -v[96:97]
	v_add_f64 v[112:113], v[54:55], v[24:25]
	v_add_f64 v[54:55], v[6:7], v[28:29]
	;; [unrolled: 1-line block ×21, first 2 shown]
	s_waitcnt vmcnt(1)
	v_mul_u32_u24_e32 v4, 0xb0, v4
	s_waitcnt vmcnt(0)
	v_or_b32_e32 v4, v4, v5
	v_lshlrev_b32_e32 v4, 4, v4
	ds_write_b128 v4, v[52:55]
	ds_write_b128 v4, v[48:51] offset:256
	ds_write_b128 v4, v[44:47] offset:512
	;; [unrolled: 1-line block ×10, first 2 shown]
.LBB0_9:
	s_or_b32 exec_lo, exec_lo, s33
	s_waitcnt lgkmcnt(0)
	s_barrier
	buffer_gl0_inv
	ds_read_b128 v[0:3], v255 offset:8448
	ds_read_b128 v[24:27], v255 offset:14080
	;; [unrolled: 1-line block ×5, first 2 shown]
	s_mov_b32 s0, 0xe8584caa
	s_mov_b32 s1, 0xbfebb67a
	;; [unrolled: 1-line block ×4, first 2 shown]
	s_waitcnt lgkmcnt(4)
	v_mul_f64 v[4:5], v[78:79], v[0:1]
	s_waitcnt lgkmcnt(3)
	v_mul_f64 v[6:7], v[94:95], v[24:25]
	;; [unrolled: 2-line block ×3, first 2 shown]
	v_mul_f64 v[42:43], v[78:79], v[2:3]
	v_mul_f64 v[44:45], v[94:95], v[26:27]
	s_waitcnt lgkmcnt(1)
	v_mul_f64 v[46:47], v[90:91], v[32:33]
	s_waitcnt lgkmcnt(0)
	v_mul_f64 v[48:49], v[86:87], v[38:39]
	v_mul_f64 v[50:51], v[86:87], v[36:37]
	v_fma_f64 v[4:5], v[76:77], v[2:3], -v[4:5]
	v_fma_f64 v[6:7], v[92:93], v[26:27], -v[6:7]
	v_mul_f64 v[26:27], v[90:91], v[34:35]
	v_mul_f64 v[2:3], v[82:83], v[30:31]
	v_fma_f64 v[42:43], v[76:77], v[0:1], v[42:43]
	v_fma_f64 v[24:25], v[92:93], v[24:25], v[44:45]
	v_fma_f64 v[30:31], v[80:81], v[30:31], -v[40:41]
	v_add_f64 v[0:1], v[4:5], v[6:7]
	v_fma_f64 v[26:27], v[88:89], v[32:33], v[26:27]
	v_fma_f64 v[32:33], v[88:89], v[34:35], -v[46:47]
	v_fma_f64 v[34:35], v[84:85], v[36:37], v[48:49]
	v_fma_f64 v[36:37], v[84:85], v[38:39], -v[50:51]
	v_add_f64 v[40:41], v[42:43], -v[24:25]
	v_fma_f64 v[28:29], v[80:81], v[28:29], v[2:3]
	v_add_f64 v[50:51], v[4:5], -v[6:7]
	v_add_f64 v[4:5], v[30:31], v[4:5]
	v_add_f64 v[38:39], v[42:43], v[24:25]
	v_fma_f64 v[44:45], v[0:1], -0.5, v[30:31]
	ds_read_b128 v[0:3], v255
	v_add_f64 v[46:47], v[26:27], v[34:35]
	v_add_f64 v[54:55], v[32:33], -v[36:37]
	v_add_f64 v[48:49], v[32:33], v[36:37]
	v_add_f64 v[4:5], v[4:5], v[6:7]
	v_fma_f64 v[38:39], v[38:39], -0.5, v[28:29]
	v_add_f64 v[28:29], v[28:29], v[42:43]
	s_waitcnt lgkmcnt(0)
	v_add_f64 v[32:33], v[2:3], v[32:33]
	v_fma_f64 v[52:53], v[40:41], s[2:3], v[44:45]
	v_fma_f64 v[40:41], v[40:41], s[0:1], v[44:45]
	v_add_f64 v[44:45], v[0:1], v[26:27]
	v_fma_f64 v[0:1], v[46:47], -0.5, v[0:1]
	v_add_f64 v[26:27], v[26:27], -v[34:35]
	v_fma_f64 v[2:3], v[48:49], -0.5, v[2:3]
	v_fma_f64 v[30:31], v[50:51], s[0:1], v[38:39]
	v_fma_f64 v[38:39], v[50:51], s[2:3], v[38:39]
	v_add_f64 v[24:25], v[28:29], v[24:25]
	v_add_f64 v[32:33], v[32:33], v[36:37]
	v_mul_f64 v[42:43], v[52:53], s[0:1]
	v_mul_f64 v[46:47], v[40:41], s[0:1]
	v_add_f64 v[34:35], v[44:45], v[34:35]
	v_fma_f64 v[6:7], v[54:55], s[0:1], v[0:1]
	v_fma_f64 v[44:45], v[54:55], s[2:3], v[0:1]
	s_clause 0x1
	buffer_load_dword v0, off, s[36:39], 0 offset:16
	buffer_load_dword v1, off, s[36:39], 0 offset:20
	v_mul_f64 v[48:49], v[52:53], 0.5
	v_mul_f64 v[40:41], v[40:41], -0.5
	v_fma_f64 v[50:51], v[26:27], s[2:3], v[2:3]
	v_fma_f64 v[52:53], v[26:27], s[0:1], v[2:3]
	s_mul_i32 s0, s9, 0x2100
	s_mul_hi_u32 s1, s8, 0x2100
	v_add_f64 v[2:3], v[32:33], v[4:5]
	v_fma_f64 v[36:37], v[30:31], 0.5, v[42:43]
	v_fma_f64 v[42:43], v[38:39], -0.5, v[46:47]
	v_add_f64 v[26:27], v[32:33], -v[4:5]
	v_mad_u64_u32 v[4:5], null, s8, v200, 0
	v_fma_f64 v[46:47], v[30:31], s[2:3], v[48:49]
	v_fma_f64 v[48:49], v[38:39], s[2:3], v[40:41]
	s_mul_i32 s2, s8, 0x2100
	s_add_i32 s3, s1, s0
	s_mul_i32 s0, s9, 0xffffea00
	v_add_f64 v[28:29], v[6:7], v[36:37]
	v_add_f64 v[32:33], v[44:45], v[42:43]
	v_add_f64 v[36:37], v[6:7], -v[36:37]
	v_add_f64 v[40:41], v[44:45], -v[42:43]
	v_add_f64 v[30:31], v[50:51], v[46:47]
	v_add_f64 v[38:39], v[50:51], -v[46:47]
	v_add_f64 v[42:43], v[52:53], -v[48:49]
	s_waitcnt vmcnt(1)
	v_mov_b32_e32 v56, v0
	s_waitcnt vmcnt(0)
	v_add_f64 v[0:1], v[34:35], v[24:25]
	v_add_f64 v[24:25], v[34:35], -v[24:25]
	v_add_f64 v[34:35], v[52:53], v[48:49]
	ds_write_b128 v255, v[0:3]
	ds_write_b128 v255, v[24:27] offset:8448
	ds_write_b128 v255, v[28:31] offset:2816
	;; [unrolled: 1-line block ×5, first 2 shown]
	s_waitcnt lgkmcnt(0)
	s_barrier
	buffer_gl0_inv
	ds_read_b128 v[0:3], v255
	ds_read_b128 v[28:31], v255 offset:2816
	ds_read_b128 v[24:27], v255 offset:8448
	;; [unrolled: 1-line block ×5, first 2 shown]
	s_clause 0x3
	buffer_load_dword v62, off, s[36:39], 0
	buffer_load_dword v63, off, s[36:39], 0 offset:4
	buffer_load_dword v64, off, s[36:39], 0 offset:8
	;; [unrolled: 1-line block ×3, first 2 shown]
	v_mad_u64_u32 v[54:55], null, s10, v56, 0
	v_mov_b32_e32 v6, v55
	v_mad_u64_u32 v[6:7], null, s11, v56, v[6:7]
	s_waitcnt lgkmcnt(3)
	v_mul_f64 v[46:47], v[10:11], v[26:27]
	v_mul_f64 v[10:11], v[10:11], v[24:25]
	s_waitcnt lgkmcnt(1)
	v_mul_f64 v[52:53], v[18:19], v[34:35]
	v_mul_f64 v[18:19], v[18:19], v[32:33]
	s_waitcnt lgkmcnt(0)
	v_mul_f64 v[56:57], v[22:23], v[42:43]
	v_mul_f64 v[22:23], v[22:23], v[40:41]
	v_mad_u64_u32 v[44:45], null, s9, v200, v[5:6]
	v_mov_b32_e32 v55, v6
	v_lshlrev_b64 v[6:7], 4, v[54:55]
	v_mov_b32_e32 v5, v44
	v_mul_f64 v[54:55], v[14:15], v[38:39]
	v_mul_f64 v[14:15], v[14:15], v[36:37]
	v_lshlrev_b64 v[4:5], 4, v[4:5]
	v_add_co_u32 v6, vcc_lo, s4, v6
	v_add_co_ci_u32_e32 v7, vcc_lo, s5, v7, vcc_lo
	s_sub_i32 s4, s0, s8
	v_add_co_u32 v44, vcc_lo, v6, v4
	v_add_co_ci_u32_e32 v45, vcc_lo, v7, v5, vcc_lo
	v_fma_f64 v[22:23], v[20:21], v[42:43], -v[22:23]
	v_add_co_u32 v58, vcc_lo, v44, s2
	v_add_co_ci_u32_e32 v59, vcc_lo, s3, v45, vcc_lo
	s_mov_b32 s0, 0xf07c1f08
	s_mov_b32 s1, 0x3f4f07c1
	v_mad_u64_u32 v[60:61], null, 0xffffea00, s8, v[58:59]
	v_add_nc_u32_e32 v61, s4, v61
	v_mul_f64 v[22:23], v[22:23], s[0:1]
	s_waitcnt vmcnt(0)
	v_mul_f64 v[4:5], v[64:65], v[2:3]
	v_mul_f64 v[6:7], v[64:65], v[0:1]
	s_clause 0x3
	buffer_load_dword v64, off, s[36:39], 0 offset:28
	buffer_load_dword v65, off, s[36:39], 0 offset:32
	;; [unrolled: 1-line block ×4, first 2 shown]
	v_fma_f64 v[0:1], v[62:63], v[0:1], v[4:5]
	v_fma_f64 v[2:3], v[62:63], v[2:3], -v[6:7]
	v_fma_f64 v[4:5], v[8:9], v[24:25], v[46:47]
	v_fma_f64 v[6:7], v[8:9], v[26:27], -v[10:11]
	;; [unrolled: 2-line block ×4, first 2 shown]
	v_mul_f64 v[0:1], v[0:1], s[0:1]
	v_mul_f64 v[2:3], v[2:3], s[0:1]
	;; [unrolled: 1-line block ×8, first 2 shown]
	s_waitcnt vmcnt(0)
	v_mul_f64 v[48:49], v[66:67], v[30:31]
	v_mul_f64 v[50:51], v[66:67], v[28:29]
	v_fma_f64 v[8:9], v[64:65], v[28:29], v[48:49]
	v_fma_f64 v[10:11], v[64:65], v[30:31], -v[50:51]
	v_fma_f64 v[28:29], v[20:21], v[40:41], v[56:57]
	v_add_co_u32 v30, vcc_lo, v60, s2
	v_add_co_ci_u32_e32 v31, vcc_lo, s3, v61, vcc_lo
	v_mad_u64_u32 v[24:25], null, 0xffffea00, s8, v[30:31]
	v_add_nc_u32_e32 v25, s4, v25
	v_add_co_u32 v26, vcc_lo, v24, s2
	v_mul_f64 v[8:9], v[8:9], s[0:1]
	v_mul_f64 v[10:11], v[10:11], s[0:1]
	;; [unrolled: 1-line block ×3, first 2 shown]
	v_add_co_ci_u32_e32 v27, vcc_lo, s3, v25, vcc_lo
	global_store_dwordx4 v[44:45], v[0:3], off
	global_store_dwordx4 v[58:59], v[4:7], off
	;; [unrolled: 1-line block ×6, first 2 shown]
.LBB0_10:
	s_endpgm
	.section	.rodata,"a",@progbits
	.p2align	6, 0x0
	.amdhsa_kernel bluestein_single_fwd_len1056_dim1_dp_op_CI_CI
		.amdhsa_group_segment_fixed_size 16896
		.amdhsa_private_segment_fixed_size 136
		.amdhsa_kernarg_size 104
		.amdhsa_user_sgpr_count 6
		.amdhsa_user_sgpr_private_segment_buffer 1
		.amdhsa_user_sgpr_dispatch_ptr 0
		.amdhsa_user_sgpr_queue_ptr 0
		.amdhsa_user_sgpr_kernarg_segment_ptr 1
		.amdhsa_user_sgpr_dispatch_id 0
		.amdhsa_user_sgpr_flat_scratch_init 0
		.amdhsa_user_sgpr_private_segment_size 0
		.amdhsa_wavefront_size32 1
		.amdhsa_uses_dynamic_stack 0
		.amdhsa_system_sgpr_private_segment_wavefront_offset 1
		.amdhsa_system_sgpr_workgroup_id_x 1
		.amdhsa_system_sgpr_workgroup_id_y 0
		.amdhsa_system_sgpr_workgroup_id_z 0
		.amdhsa_system_sgpr_workgroup_info 0
		.amdhsa_system_vgpr_workitem_id 0
		.amdhsa_next_free_vgpr 256
		.amdhsa_next_free_sgpr 40
		.amdhsa_reserve_vcc 1
		.amdhsa_reserve_flat_scratch 0
		.amdhsa_float_round_mode_32 0
		.amdhsa_float_round_mode_16_64 0
		.amdhsa_float_denorm_mode_32 3
		.amdhsa_float_denorm_mode_16_64 3
		.amdhsa_dx10_clamp 1
		.amdhsa_ieee_mode 1
		.amdhsa_fp16_overflow 0
		.amdhsa_workgroup_processor_mode 1
		.amdhsa_memory_ordered 1
		.amdhsa_forward_progress 0
		.amdhsa_shared_vgpr_count 0
		.amdhsa_exception_fp_ieee_invalid_op 0
		.amdhsa_exception_fp_denorm_src 0
		.amdhsa_exception_fp_ieee_div_zero 0
		.amdhsa_exception_fp_ieee_overflow 0
		.amdhsa_exception_fp_ieee_underflow 0
		.amdhsa_exception_fp_ieee_inexact 0
		.amdhsa_exception_int_div_zero 0
	.end_amdhsa_kernel
	.text
.Lfunc_end0:
	.size	bluestein_single_fwd_len1056_dim1_dp_op_CI_CI, .Lfunc_end0-bluestein_single_fwd_len1056_dim1_dp_op_CI_CI
                                        ; -- End function
	.section	.AMDGPU.csdata,"",@progbits
; Kernel info:
; codeLenInByte = 13488
; NumSgprs: 42
; NumVgprs: 256
; ScratchSize: 136
; MemoryBound: 0
; FloatMode: 240
; IeeeMode: 1
; LDSByteSize: 16896 bytes/workgroup (compile time only)
; SGPRBlocks: 5
; VGPRBlocks: 31
; NumSGPRsForWavesPerEU: 42
; NumVGPRsForWavesPerEU: 256
; Occupancy: 4
; WaveLimiterHint : 1
; COMPUTE_PGM_RSRC2:SCRATCH_EN: 1
; COMPUTE_PGM_RSRC2:USER_SGPR: 6
; COMPUTE_PGM_RSRC2:TRAP_HANDLER: 0
; COMPUTE_PGM_RSRC2:TGID_X_EN: 1
; COMPUTE_PGM_RSRC2:TGID_Y_EN: 0
; COMPUTE_PGM_RSRC2:TGID_Z_EN: 0
; COMPUTE_PGM_RSRC2:TIDIG_COMP_CNT: 0
	.text
	.p2alignl 6, 3214868480
	.fill 48, 4, 3214868480
	.type	__hip_cuid_547ad84259a03afa,@object ; @__hip_cuid_547ad84259a03afa
	.section	.bss,"aw",@nobits
	.globl	__hip_cuid_547ad84259a03afa
__hip_cuid_547ad84259a03afa:
	.byte	0                               ; 0x0
	.size	__hip_cuid_547ad84259a03afa, 1

	.ident	"AMD clang version 19.0.0git (https://github.com/RadeonOpenCompute/llvm-project roc-6.4.0 25133 c7fe45cf4b819c5991fe208aaa96edf142730f1d)"
	.section	".note.GNU-stack","",@progbits
	.addrsig
	.addrsig_sym __hip_cuid_547ad84259a03afa
	.amdgpu_metadata
---
amdhsa.kernels:
  - .args:
      - .actual_access:  read_only
        .address_space:  global
        .offset:         0
        .size:           8
        .value_kind:     global_buffer
      - .actual_access:  read_only
        .address_space:  global
        .offset:         8
        .size:           8
        .value_kind:     global_buffer
      - .actual_access:  read_only
        .address_space:  global
        .offset:         16
        .size:           8
        .value_kind:     global_buffer
      - .actual_access:  read_only
        .address_space:  global
        .offset:         24
        .size:           8
        .value_kind:     global_buffer
      - .actual_access:  read_only
        .address_space:  global
        .offset:         32
        .size:           8
        .value_kind:     global_buffer
      - .offset:         40
        .size:           8
        .value_kind:     by_value
      - .address_space:  global
        .offset:         48
        .size:           8
        .value_kind:     global_buffer
      - .address_space:  global
        .offset:         56
        .size:           8
        .value_kind:     global_buffer
      - .address_space:  global
        .offset:         64
        .size:           8
        .value_kind:     global_buffer
      - .address_space:  global
        .offset:         72
        .size:           8
        .value_kind:     global_buffer
      - .offset:         80
        .size:           4
        .value_kind:     by_value
      - .address_space:  global
        .offset:         88
        .size:           8
        .value_kind:     global_buffer
      - .address_space:  global
        .offset:         96
        .size:           8
        .value_kind:     global_buffer
    .group_segment_fixed_size: 16896
    .kernarg_segment_align: 8
    .kernarg_segment_size: 104
    .language:       OpenCL C
    .language_version:
      - 2
      - 0
    .max_flat_workgroup_size: 176
    .name:           bluestein_single_fwd_len1056_dim1_dp_op_CI_CI
    .private_segment_fixed_size: 136
    .sgpr_count:     42
    .sgpr_spill_count: 0
    .symbol:         bluestein_single_fwd_len1056_dim1_dp_op_CI_CI.kd
    .uniform_work_group_size: 1
    .uses_dynamic_stack: false
    .vgpr_count:     256
    .vgpr_spill_count: 33
    .wavefront_size: 32
    .workgroup_processor_mode: 1
amdhsa.target:   amdgcn-amd-amdhsa--gfx1030
amdhsa.version:
  - 1
  - 2
...

	.end_amdgpu_metadata
